;; amdgpu-corpus repo=ROCm/aiter kind=harvested arch=n/a opt=n/a

/root/src/amdgpu-assembly/repos/ROCm__aiter/hsa/gfx942/fmoe_2stages/fmoe_stage1_bf16_pertokenInt8_g1u1_48x512_pf2.co:	file format elf64-amdgpu

Disassembly of section .text:

0000000000002a00 <_ZN5aiter45fmoe_stage1_bf16_pertokenInt8_g1u1_48x512_pf2E>:
	s_and_b32 s1, s1, 0xffff                                   // 000000002A00: 8601FF01 0000FFFF
	s_load_dwordx2 s[8:9], s[0:1], 0x0                         // 000000002A08: C0060200 00000000
	s_load_dwordx2 s[20:21], s[0:1], 0x10                      // 000000002A10: C0060500 00000010
	s_load_dwordx2 s[24:25], s[0:1], 0x20                      // 000000002A18: C0060600 00000020
	s_load_dwordx2 s[48:49], s[0:1], 0x30                      // 000000002A20: C0060C00 00000030
	s_load_dwordx2 s[28:29], s[0:1], 0x40                      // 000000002A28: C0060700 00000040
	s_load_dwordx2 s[32:33], s[0:1], 0x50                      // 000000002A30: C0060800 00000050
	s_load_dwordx2 s[36:37], s[0:1], 0x60                      // 000000002A38: C0060900 00000060
	s_load_dwordx2 s[12:13], s[0:1], 0x70                      // 000000002A40: C0060300 00000070
	s_load_dwordx2 s[44:45], s[0:1], 0x80                      // 000000002A48: C0060B00 00000080
	s_mov_b32 s89, 0                                           // 000000002A50: BED90080
	s_load_dword s64, s[0:1], 0x90                             // 000000002A54: C0021000 00000090
	s_load_dword s65, s[0:1], 0xa0                             // 000000002A5C: C0021040 000000A0
	s_load_dword s66, s[0:1], 0xb0                             // 000000002A64: C0021080 000000B0
	s_load_dword s67, s[0:1], 0xc0                             // 000000002A6C: C00210C0 000000C0
	s_load_dword s68, s[0:1], 0xd0                             // 000000002A74: C0021100 000000D0
	s_load_dword s69, s[0:1], 0xe0                             // 000000002A7C: C0021140 000000E0
	s_load_dword s71, s[0:1], 0xf0                             // 000000002A84: C00211C0 000000F0
	s_load_dword s72, s[0:1], 0x100                            // 000000002A8C: C0021200 00000100
	s_load_dword s74, s[0:1], 0x110                            // 000000002A94: C0021280 00000110
	s_load_dword s76, s[0:1], 0x120                            // 000000002A9C: C0021300 00000120
	s_load_dword s56, s[0:1], 0x130                            // 000000002AA4: C0020E00 00000130
	s_load_dword s88, s[0:1], 0x140                            // 000000002AAC: C0021600 00000140
	s_load_dword s89, s[0:1], 0x150                            // 000000002AB4: C0021640 00000150
	v_lshrrev_b32_e32 v1, 10, v0                               // 000000002ABC: 2002008A
	v_lshrrev_b32_e32 v2, 10, v1                               // 000000002AC0: 2004028A
	v_and_b32_e32 v2, 0x3ff, v2                                // 000000002AC4: 260404FF 000003FF
	v_and_b32_e32 v1, 0x3ff, v1                                // 000000002ACC: 260202FF 000003FF
	v_and_b32_e32 v0, 0x3ff, v0                                // 000000002AD4: 260000FF 000003FF
	v_lshrrev_b32_e32 v3, 6, v0                                // 000000002ADC: 20060086
	v_and_b32_e32 v0, 63, v0                                   // 000000002AE0: 260000BF
	s_mov_b32 s2, s2                                           // 000000002AE4: BE820002
	s_mov_b32 s3, s3                                           // 000000002AE8: BE830003
	s_mov_b32 s4, s4                                           // 000000002AEC: BE840004
	v_readfirstlane_b32 s7, v3                                 // 000000002AF0: 7E0E0503
	s_waitcnt lgkmcnt(0)                                       // 000000002AF4: BF8CC07F
	s_and_b32 s49, s49, 0xffff                                 // 000000002AF8: 8631FF31 0000FFFF
	s_load_dword s48, s[48:49], 0x0                            // 000000002B00: C0020C18 00000000
	s_and_b32 s45, s45, 0xffff                                 // 000000002B08: 862DFF2D 0000FFFF
	s_and_b32 s9, s9, 0xffff                                   // 000000002B10: 8609FF09 0000FFFF
	s_mul_i32 s60, s66, s68                                    // 000000002B18: 923C4442
	s_mul_i32 s61, s66, 4                                      // 000000002B1C: 923D8442
	s_mov_b32 s22, s60                                         // 000000002B20: BE96003C
	s_mov_b32 s26, -16                                         // 000000002B24: BE9A00D0
	s_mov_b32 s30, s61                                         // 000000002B28: BE9E003D
	s_mov_b32 s14, 0xc0                                        // 000000002B2C: BE8E00FF 000000C0
	s_mov_b32 s38, -16                                         // 000000002B34: BEA600D0
	s_mov_b32 s10, -16                                         // 000000002B38: BE8A00D0
	s_mov_b32 s34, 0x800                                       // 000000002B3C: BEA200FF 00000800
	s_mov_b32 s23, 0x20000                                     // 000000002B44: BE9700FF 00020000
	s_mov_b32 s27, 0x20000                                     // 000000002B4C: BE9B00FF 00020000
	s_mov_b32 s31, 0x20000                                     // 000000002B54: BE9F00FF 00020000
	s_mov_b32 s35, 0x20000                                     // 000000002B5C: BEA300FF 00020000
	s_mov_b32 s15, 0x20000                                     // 000000002B64: BE8F00FF 00020000
	s_mov_b32 s39, 0x20000                                     // 000000002B6C: BEA700FF 00020000
	s_mov_b32 s11, 0x20000                                     // 000000002B74: BE8B00FF 00020000
	s_and_b32 s21, s21, 0xffff                                 // 000000002B7C: 8615FF15 0000FFFF
	s_and_b32 s25, s25, 0xffff                                 // 000000002B84: 8619FF19 0000FFFF
	s_and_b32 s29, s29, 0xffff                                 // 000000002B8C: 861DFF1D 0000FFFF
	s_and_b32 s33, s33, 0xffff                                 // 000000002B94: 8621FF21 0000FFFF
	s_and_b32 s13, s13, 0xffff                                 // 000000002B9C: 860DFF0D 0000FFFF
	s_and_b32 s37, s37, 0xffff                                 // 000000002BA4: 8625FF25 0000FFFF
	s_or_b32 s21, s21, 0x40000                                 // 000000002BAC: 8715FF15 00040000
	s_or_b32 s25, s25, 0x40000                                 // 000000002BB4: 8719FF19 00040000
	s_or_b32 s29, s29, 0x40000                                 // 000000002BBC: 871DFF1D 00040000
	s_or_b32 s33, s33, 0x40000                                 // 000000002BC4: 8721FF21 00040000
	s_or_b32 s13, s13, 0x40000                                 // 000000002BCC: 870DFF0D 00040000
	s_or_b32 s37, s37, 0x40000                                 // 000000002BD4: 8725FF25 00040000
	v_accvgpr_write_b32 a175, 0                                // 000000002BDC: D3D940AF 18000080
	v_mov_b32_e32 v247, 0                                      // 000000002BE4: 7FEE0280
	s_waitcnt lgkmcnt(0)                                       // 000000002BE8: BF8CC07F
	s_mul_i32 s60, s3, 48                                      // 000000002BEC: 923CB003
	s_cmp_lt_i32 s60, s48                                      // 000000002BF0: BF04303C
	s_cbranch_scc0 label_3369                                  // 000000002BF4: BF8432E8
	s_mov_b32 s80, 0                                           // 000000002BF8: BED00080
	s_lshr_b32 s81, s64, s88                                   // 000000002BFC: 8F515840
	s_mul_i32 s60, s3, 4                                       // 000000002C00: 923C8403
	s_add_u32 s44, s60, s44                                    // 000000002C04: 802C2C3C
	s_addc_u32 s45, 0, s45                                     // 000000002C08: 822D2D80
	s_load_dword s5, s[44:45], 0x0                             // 000000002C0C: C0020156 00000000
	s_mul_i32 s60, s3, 48                                      // 000000002C14: 923CB003
	s_mul_i32 s60, 4, s60                                      // 000000002C18: 923C3C84
	s_add_u32 s12, s60, s12                                    // 000000002C1C: 800C0C3C
	s_addc_u32 s13, 0, s13                                     // 000000002C20: 820D0D80
	v_and_b32_e32 v4, 15, v0                                   // 000000002C24: 2608008F
	v_lshlrev_b32_e32 v4, 2, v4                                // 000000002C28: 24080882
	buffer_load_dword v29, v4, s[12:15], 0 offen               // 000000002C2C: E0501000 80031D04
	v_add_u32_e32 v4, 64, v4                                   // 000000002C34: 680808C0
	buffer_load_dword v30, v4, s[12:15], 0 offen               // 000000002C38: E0501000 80031E04
	v_add_u32_e32 v4, 64, v4                                   // 000000002C40: 680808C0
	buffer_load_dword v31, v4, s[12:15], 0 offen               // 000000002C44: E0501000 80031F04
	v_add_u32_e32 v4, 64, v4                                   // 000000002C4C: 680808C0
	s_mul_i32 s60, 4, s7                                       // 000000002C50: 923C0784
	v_lshlrev_b32_e32 v4, 4, v0                                // 000000002C54: 24080084
	v_add_u32_e32 v4, s60, v4                                  // 000000002C58: 6808083C
	buffer_load_dword v3, v4, s[12:15], 0 offen                // 000000002C5C: E0501000 80030304
	v_mov_b32_e32 v56, 0                                       // 000000002C64: 7E700280
	v_mov_b32_e32 v152, 0                                      // 000000002C68: 7F300280
	v_mov_b32_e32 v57, 0                                       // 000000002C6C: 7E720280
	v_mov_b32_e32 v153, 0                                      // 000000002C70: 7F320280
	v_mov_b32_e32 v58, 0                                       // 000000002C74: 7E740280
	v_mov_b32_e32 v154, 0                                      // 000000002C78: 7F340280
	v_mov_b32_e32 v59, 0                                       // 000000002C7C: 7E760280
	v_mov_b32_e32 v155, 0                                      // 000000002C80: 7F360280
	v_mov_b32_e32 v60, 0                                       // 000000002C84: 7E780280
	v_mov_b32_e32 v156, 0                                      // 000000002C88: 7F380280
	v_mov_b32_e32 v61, 0                                       // 000000002C8C: 7E7A0280
	v_mov_b32_e32 v157, 0                                      // 000000002C90: 7F3A0280
	v_mov_b32_e32 v62, 0                                       // 000000002C94: 7E7C0280
	v_mov_b32_e32 v158, 0                                      // 000000002C98: 7F3C0280
	v_mov_b32_e32 v63, 0                                       // 000000002C9C: 7E7E0280
	v_mov_b32_e32 v159, 0                                      // 000000002CA0: 7F3E0280
	v_mov_b32_e32 v64, 0                                       // 000000002CA4: 7E800280
	v_mov_b32_e32 v160, 0                                      // 000000002CA8: 7F400280
	v_mov_b32_e32 v65, 0                                       // 000000002CAC: 7E820280
	v_mov_b32_e32 v161, 0                                      // 000000002CB0: 7F420280
	v_mov_b32_e32 v66, 0                                       // 000000002CB4: 7E840280
	v_mov_b32_e32 v162, 0                                      // 000000002CB8: 7F440280
	v_mov_b32_e32 v67, 0                                       // 000000002CBC: 7E860280
	v_mov_b32_e32 v163, 0                                      // 000000002CC0: 7F460280
	v_mov_b32_e32 v68, 0                                       // 000000002CC4: 7E880280
	v_mov_b32_e32 v164, 0                                      // 000000002CC8: 7F480280
	v_mov_b32_e32 v69, 0                                       // 000000002CCC: 7E8A0280
	v_mov_b32_e32 v165, 0                                      // 000000002CD0: 7F4A0280
	v_mov_b32_e32 v70, 0                                       // 000000002CD4: 7E8C0280
	v_mov_b32_e32 v166, 0                                      // 000000002CD8: 7F4C0280
	v_mov_b32_e32 v71, 0                                       // 000000002CDC: 7E8E0280
	v_mov_b32_e32 v167, 0                                      // 000000002CE0: 7F4E0280
	v_mov_b32_e32 v72, 0                                       // 000000002CE4: 7E900280
	v_mov_b32_e32 v168, 0                                      // 000000002CE8: 7F500280
	v_mov_b32_e32 v73, 0                                       // 000000002CEC: 7E920280
	v_mov_b32_e32 v169, 0                                      // 000000002CF0: 7F520280
	v_mov_b32_e32 v74, 0                                       // 000000002CF4: 7E940280
	v_mov_b32_e32 v170, 0                                      // 000000002CF8: 7F540280
	v_mov_b32_e32 v75, 0                                       // 000000002CFC: 7E960280
	v_mov_b32_e32 v171, 0                                      // 000000002D00: 7F560280
	v_mov_b32_e32 v76, 0                                       // 000000002D04: 7E980280
	v_mov_b32_e32 v172, 0                                      // 000000002D08: 7F580280
	v_mov_b32_e32 v77, 0                                       // 000000002D0C: 7E9A0280
	v_mov_b32_e32 v173, 0                                      // 000000002D10: 7F5A0280
	v_mov_b32_e32 v78, 0                                       // 000000002D14: 7E9C0280
	v_mov_b32_e32 v174, 0                                      // 000000002D18: 7F5C0280
	v_mov_b32_e32 v79, 0                                       // 000000002D1C: 7E9E0280
	v_mov_b32_e32 v175, 0                                      // 000000002D20: 7F5E0280
	v_mov_b32_e32 v80, 0                                       // 000000002D24: 7EA00280
	v_mov_b32_e32 v176, 0                                      // 000000002D28: 7F600280
	v_mov_b32_e32 v81, 0                                       // 000000002D2C: 7EA20280
	v_mov_b32_e32 v177, 0                                      // 000000002D30: 7F620280
	v_mov_b32_e32 v82, 0                                       // 000000002D34: 7EA40280
	v_mov_b32_e32 v178, 0                                      // 000000002D38: 7F640280
	v_mov_b32_e32 v83, 0                                       // 000000002D3C: 7EA60280
	v_mov_b32_e32 v179, 0                                      // 000000002D40: 7F660280
	v_mov_b32_e32 v84, 0                                       // 000000002D44: 7EA80280
	v_mov_b32_e32 v180, 0                                      // 000000002D48: 7F680280
	v_mov_b32_e32 v85, 0                                       // 000000002D4C: 7EAA0280
	v_mov_b32_e32 v181, 0                                      // 000000002D50: 7F6A0280
	v_mov_b32_e32 v86, 0                                       // 000000002D54: 7EAC0280
	v_mov_b32_e32 v182, 0                                      // 000000002D58: 7F6C0280
	v_mov_b32_e32 v87, 0                                       // 000000002D5C: 7EAE0280
	v_mov_b32_e32 v183, 0                                      // 000000002D60: 7F6E0280
	v_mov_b32_e32 v88, 0                                       // 000000002D64: 7EB00280
	v_mov_b32_e32 v184, 0                                      // 000000002D68: 7F700280
	v_mov_b32_e32 v89, 0                                       // 000000002D6C: 7EB20280
	v_mov_b32_e32 v185, 0                                      // 000000002D70: 7F720280
	v_mov_b32_e32 v90, 0                                       // 000000002D74: 7EB40280
	v_mov_b32_e32 v186, 0                                      // 000000002D78: 7F740280
	v_mov_b32_e32 v91, 0                                       // 000000002D7C: 7EB60280
	v_mov_b32_e32 v187, 0                                      // 000000002D80: 7F760280
	v_mov_b32_e32 v92, 0                                       // 000000002D84: 7EB80280
	v_mov_b32_e32 v188, 0                                      // 000000002D88: 7F780280
	v_mov_b32_e32 v93, 0                                       // 000000002D8C: 7EBA0280
	v_mov_b32_e32 v189, 0                                      // 000000002D90: 7F7A0280
	v_mov_b32_e32 v94, 0                                       // 000000002D94: 7EBC0280
	v_mov_b32_e32 v190, 0                                      // 000000002D98: 7F7C0280
	v_mov_b32_e32 v95, 0                                       // 000000002D9C: 7EBE0280
	v_mov_b32_e32 v191, 0                                      // 000000002DA0: 7F7E0280
	v_mov_b32_e32 v96, 0                                       // 000000002DA4: 7EC00280
	v_mov_b32_e32 v192, 0                                      // 000000002DA8: 7F800280
	v_mov_b32_e32 v97, 0                                       // 000000002DAC: 7EC20280
	v_mov_b32_e32 v193, 0                                      // 000000002DB0: 7F820280
	v_mov_b32_e32 v98, 0                                       // 000000002DB4: 7EC40280
	v_mov_b32_e32 v194, 0                                      // 000000002DB8: 7F840280
	v_mov_b32_e32 v99, 0                                       // 000000002DBC: 7EC60280
	v_mov_b32_e32 v195, 0                                      // 000000002DC0: 7F860280
	v_mov_b32_e32 v100, 0                                      // 000000002DC4: 7EC80280
	v_mov_b32_e32 v196, 0                                      // 000000002DC8: 7F880280
	v_mov_b32_e32 v101, 0                                      // 000000002DCC: 7ECA0280
	v_mov_b32_e32 v197, 0                                      // 000000002DD0: 7F8A0280
	v_mov_b32_e32 v102, 0                                      // 000000002DD4: 7ECC0280
	v_mov_b32_e32 v198, 0                                      // 000000002DD8: 7F8C0280
	v_mov_b32_e32 v103, 0                                      // 000000002DDC: 7ECE0280
	v_mov_b32_e32 v199, 0                                      // 000000002DE0: 7F8E0280
	v_mov_b32_e32 v104, 0                                      // 000000002DE4: 7ED00280
	v_mov_b32_e32 v200, 0                                      // 000000002DE8: 7F900280
	v_mov_b32_e32 v105, 0                                      // 000000002DEC: 7ED20280
	v_mov_b32_e32 v201, 0                                      // 000000002DF0: 7F920280
	v_mov_b32_e32 v106, 0                                      // 000000002DF4: 7ED40280
	v_mov_b32_e32 v202, 0                                      // 000000002DF8: 7F940280
	v_mov_b32_e32 v107, 0                                      // 000000002DFC: 7ED60280
	v_mov_b32_e32 v203, 0                                      // 000000002E00: 7F960280
	v_mov_b32_e32 v108, 0                                      // 000000002E04: 7ED80280
	v_mov_b32_e32 v204, 0                                      // 000000002E08: 7F980280
	v_mov_b32_e32 v109, 0                                      // 000000002E0C: 7EDA0280
	v_mov_b32_e32 v205, 0                                      // 000000002E10: 7F9A0280
	v_mov_b32_e32 v110, 0                                      // 000000002E14: 7EDC0280
	v_mov_b32_e32 v206, 0                                      // 000000002E18: 7F9C0280
	v_mov_b32_e32 v111, 0                                      // 000000002E1C: 7EDE0280
	v_mov_b32_e32 v207, 0                                      // 000000002E20: 7F9E0280
	v_mov_b32_e32 v112, 0                                      // 000000002E24: 7EE00280
	v_mov_b32_e32 v208, 0                                      // 000000002E28: 7FA00280
	v_mov_b32_e32 v113, 0                                      // 000000002E2C: 7EE20280
	v_mov_b32_e32 v209, 0                                      // 000000002E30: 7FA20280
	v_mov_b32_e32 v114, 0                                      // 000000002E34: 7EE40280
	v_mov_b32_e32 v210, 0                                      // 000000002E38: 7FA40280
	v_mov_b32_e32 v115, 0                                      // 000000002E3C: 7EE60280
	v_mov_b32_e32 v211, 0                                      // 000000002E40: 7FA60280
	v_mov_b32_e32 v116, 0                                      // 000000002E44: 7EE80280
	v_mov_b32_e32 v212, 0                                      // 000000002E48: 7FA80280
	v_mov_b32_e32 v117, 0                                      // 000000002E4C: 7EEA0280
	v_mov_b32_e32 v213, 0                                      // 000000002E50: 7FAA0280
	v_mov_b32_e32 v118, 0                                      // 000000002E54: 7EEC0280
	v_mov_b32_e32 v214, 0                                      // 000000002E58: 7FAC0280
	v_mov_b32_e32 v119, 0                                      // 000000002E5C: 7EEE0280
	v_mov_b32_e32 v215, 0                                      // 000000002E60: 7FAE0280
	v_mov_b32_e32 v120, 0                                      // 000000002E64: 7EF00280
	v_mov_b32_e32 v216, 0                                      // 000000002E68: 7FB00280
	v_mov_b32_e32 v121, 0                                      // 000000002E6C: 7EF20280
	v_mov_b32_e32 v217, 0                                      // 000000002E70: 7FB20280
	v_mov_b32_e32 v122, 0                                      // 000000002E74: 7EF40280
	v_mov_b32_e32 v218, 0                                      // 000000002E78: 7FB40280
	v_mov_b32_e32 v123, 0                                      // 000000002E7C: 7EF60280
	v_mov_b32_e32 v219, 0                                      // 000000002E80: 7FB60280
	v_mov_b32_e32 v124, 0                                      // 000000002E84: 7EF80280
	v_mov_b32_e32 v220, 0                                      // 000000002E88: 7FB80280
	v_mov_b32_e32 v125, 0                                      // 000000002E8C: 7EFA0280
	v_mov_b32_e32 v221, 0                                      // 000000002E90: 7FBA0280
	v_mov_b32_e32 v126, 0                                      // 000000002E94: 7EFC0280
	v_mov_b32_e32 v222, 0                                      // 000000002E98: 7FBC0280
	v_mov_b32_e32 v127, 0                                      // 000000002E9C: 7EFE0280
	v_mov_b32_e32 v223, 0                                      // 000000002EA0: 7FBE0280
	v_mov_b32_e32 v128, 0                                      // 000000002EA4: 7F000280
	v_mov_b32_e32 v224, 0                                      // 000000002EA8: 7FC00280
	v_mov_b32_e32 v129, 0                                      // 000000002EAC: 7F020280
	v_mov_b32_e32 v225, 0                                      // 000000002EB0: 7FC20280
	v_mov_b32_e32 v130, 0                                      // 000000002EB4: 7F040280
	v_mov_b32_e32 v226, 0                                      // 000000002EB8: 7FC40280
	v_mov_b32_e32 v131, 0                                      // 000000002EBC: 7F060280
	v_mov_b32_e32 v227, 0                                      // 000000002EC0: 7FC60280
	v_mov_b32_e32 v132, 0                                      // 000000002EC4: 7F080280
	v_mov_b32_e32 v228, 0                                      // 000000002EC8: 7FC80280
	v_mov_b32_e32 v133, 0                                      // 000000002ECC: 7F0A0280
	v_mov_b32_e32 v229, 0                                      // 000000002ED0: 7FCA0280
	v_mov_b32_e32 v134, 0                                      // 000000002ED4: 7F0C0280
	v_mov_b32_e32 v230, 0                                      // 000000002ED8: 7FCC0280
	v_mov_b32_e32 v135, 0                                      // 000000002EDC: 7F0E0280
	v_mov_b32_e32 v231, 0                                      // 000000002EE0: 7FCE0280
	v_mov_b32_e32 v136, 0                                      // 000000002EE4: 7F100280
	v_mov_b32_e32 v232, 0                                      // 000000002EE8: 7FD00280
	v_mov_b32_e32 v137, 0                                      // 000000002EEC: 7F120280
	v_mov_b32_e32 v233, 0                                      // 000000002EF0: 7FD20280
	v_mov_b32_e32 v138, 0                                      // 000000002EF4: 7F140280
	v_mov_b32_e32 v234, 0                                      // 000000002EF8: 7FD40280
	v_mov_b32_e32 v139, 0                                      // 000000002EFC: 7F160280
	v_mov_b32_e32 v235, 0                                      // 000000002F00: 7FD60280
	v_mov_b32_e32 v140, 0                                      // 000000002F04: 7F180280
	v_mov_b32_e32 v236, 0                                      // 000000002F08: 7FD80280
	v_mov_b32_e32 v141, 0                                      // 000000002F0C: 7F1A0280
	v_mov_b32_e32 v237, 0                                      // 000000002F10: 7FDA0280
	v_mov_b32_e32 v142, 0                                      // 000000002F14: 7F1C0280
	v_mov_b32_e32 v238, 0                                      // 000000002F18: 7FDC0280
	v_mov_b32_e32 v143, 0                                      // 000000002F1C: 7F1E0280
	v_mov_b32_e32 v239, 0                                      // 000000002F20: 7FDE0280
	v_mov_b32_e32 v144, 0                                      // 000000002F24: 7F200280
	v_mov_b32_e32 v240, 0                                      // 000000002F28: 7FE00280
	v_mov_b32_e32 v145, 0                                      // 000000002F2C: 7F220280
	v_mov_b32_e32 v241, 0                                      // 000000002F30: 7FE20280
	v_mov_b32_e32 v146, 0                                      // 000000002F34: 7F240280
	v_mov_b32_e32 v242, 0                                      // 000000002F38: 7FE40280
	v_mov_b32_e32 v147, 0                                      // 000000002F3C: 7F260280
	v_mov_b32_e32 v243, 0                                      // 000000002F40: 7FE60280
	v_mov_b32_e32 v148, 0                                      // 000000002F44: 7F280280
	v_mov_b32_e32 v244, 0                                      // 000000002F48: 7FE80280
	v_mov_b32_e32 v149, 0                                      // 000000002F4C: 7F2A0280
	v_mov_b32_e32 v245, 0                                      // 000000002F50: 7FEA0280
	v_mov_b32_e32 v150, 0                                      // 000000002F54: 7F2C0280
	v_mov_b32_e32 v246, 0                                      // 000000002F58: 7FEC0280
	v_mov_b32_e32 v151, 0                                      // 000000002F5C: 7F2E0280
	v_mov_b32_e32 v247, 0                                      // 000000002F60: 7FEE0280
	s_mul_i32 s60, s2, 0x400                                   // 000000002F64: 923CFF02 00000400
	s_cmp_eq_u32 s88, 0                                        // 000000002F6C: BF068058
	s_cselect_b32 s61, 1, 2                                    // 000000002F70: 853D8281
	s_mul_i32 s60, s60, s61                                    // 000000002F74: 923C3D3C
	s_mov_b32 s90, s8                                          // 000000002F78: BEDA0008
	s_mov_b32 s91, s9                                          // 000000002F7C: BEDB0009
	s_add_u32 s8, s60, s8                                      // 000000002F80: 8008083C
	s_addc_u32 s9, 0, s9                                       // 000000002F84: 82090980
	v_lshrrev_b32_e32 v4, 4, v0                                // 000000002F88: 20080084
	v_mul_lo_u32 v20, 34, v4                                   // 000000002F8C: D2850014 000208A2
	v_and_b32_e32 v4, 15, v0                                   // 000000002F94: 2608008F
	v_mul_lo_u32 v5, 2, v4                                     // 000000002F98: D2850005 00020882
	v_add_u32_e32 v20, v5, v20                                 // 000000002FA0: 68282905
	s_mul_i32 s60, s7, 0x88                                    // 000000002FA4: 923CFF07 00000088
	v_add_u32_e32 v20, s60, v20                                // 000000002FAC: 6828283C
	v_lshlrev_b32_e32 v20, 2, v20                              // 000000002FB0: 24282882
	v_and_b32_e32 v4, 31, v0                                   // 000000002FB4: 2608009F
	v_lshrrev_b32_e32 v4, 1, v4                                // 000000002FB8: 20080881
	v_mul_lo_u32 v21, 34, v4                                   // 000000002FBC: D2850015 000208A2
	v_lshrrev_b32_e32 v4, 5, v0                                // 000000002FC4: 20080085
	v_mul_lo_u32 v4, 8, v4                                     // 000000002FC8: D2850004 00020888
	v_add_u32_e32 v21, v21, v4                                 // 000000002FD0: 682A0915
	v_and_b32_e32 v5, 1, v0                                    // 000000002FD4: 260A0081
	v_add_u32_e32 v21, v5, v21                                 // 000000002FD8: 682A2B05
	s_mul_i32 s60, s7, 2                                       // 000000002FDC: 923C8207
	v_add_u32_e32 v21, s60, v21                                // 000000002FE0: 682A2A3C
	v_lshlrev_b32_e32 v21, 2, v21                              // 000000002FE4: 242A2A82
	s_mul_i32 s60, s7, 0x620                                   // 000000002FE8: 923CFF07 00000620
	s_add_u32 s48, 0, s60                                      // 000000002FF0: 80303C80
	s_add_u32 s49, 0x1880, s48                                 // 000000002FF4: 803130FF 00001880
	v_lshrrev_b32_e32 v4, 4, v0                                // 000000002FFC: 20080084
	v_lshlrev_b32_e32 v5, 2, v4                                // 000000003000: 240A0882
	v_and_b32_e32 v4, 15, v0                                   // 000000003004: 2608008F
	v_lshrrev_b32_e32 v6, 2, v4                                // 000000003008: 200C0882
	v_lshlrev_b32_e32 v6, 5, v6                                // 00000000300C: 240C0C85
	v_add_u32_e32 v5, v6, v5                                   // 000000003010: 680A0B06
	v_and_b32_e32 v4, 3, v0                                    // 000000003014: 26080083
	v_mul_u32_u24_e32 v6, 0x188, v4                            // 000000003018: 100C08FF 00000188
	v_add_u32_e32 v5, v6, v5                                   // 000000003020: 680A0B06
	v_lshlrev_b32_e32 v2, 2, v5                                // 000000003024: 24040A82
	s_waitcnt lgkmcnt(0)                                       // 000000003028: BF8CC07F
	s_mul_i32 s60, s2, 0x200                                   // 00000000302C: 923CFF02 00000200
	s_mul_i32 s60, s60, s69                                    // 000000003034: 923C453C
	s_mul_i32 s61, s5, s72                                     // 000000003038: 923D4805
	s_add_u32 s60, s61, s60                                    // 00000000303C: 803C3C3D
	s_add_u32 s24, s60, s24                                    // 000000003040: 8018183C
	s_addc_u32 s25, 0, s25                                     // 000000003044: 82191980
	s_lshr_b32 s60, s64, s88                                   // 000000003048: 8F3C5840
	s_mul_i32 s60, s4, s60                                     // 00000000304C: 923C3C04
	s_lshr_b32 s60, s60, 7                                     // 000000003050: 8F3C873C
	s_mul_i32 s60, s60, 0x800                                  // 000000003054: 923CFF3C 00000800
	s_add_u32 s24, s60, s24                                    // 00000000305C: 8018183C
	s_addc_u32 s25, 0, s25                                     // 000000003060: 82191980
	s_lshr_b32 s60, s69, s88                                   // 000000003064: 8F3C5845
	s_mul_i32 s60, s4, s60                                     // 000000003068: 923C3C04
	s_add_u32 s20, s60, s20                                    // 00000000306C: 8014143C
	s_addc_u32 s21, 0, s21                                     // 000000003070: 82151580
	s_mul_i32 s60, s7, 16                                      // 000000003074: 923C9007
	s_mul_i32 s60, s60, s69                                    // 000000003078: 923C453C
	v_lshlrev_b32_e32 v47, 4, v0                               // 00000000307C: 245E0084
	v_add_u32_e32 v47, s60, v47                                // 000000003080: 685E5E3C
	s_mul_i32 s60, 64, s69                                     // 000000003084: 923C45C0
	v_add_u32_e32 v48, s60, v47                                // 000000003088: 68605E3C
	v_add_u32_e32 v49, s60, v48                                // 00000000308C: 6862603C
	v_add_u32_e32 v50, s60, v49                                // 000000003090: 6864623C
	v_add_u32_e32 v51, s60, v50                                // 000000003094: 6866643C
	v_add_u32_e32 v52, s60, v51                                // 000000003098: 6868663C
	v_add_u32_e32 v53, s60, v52                                // 00000000309C: 686A683C
	v_add_u32_e32 v54, s60, v53                                // 0000000030A0: 686C6A3C
	s_mov_b32 s84, s24                                         // 0000000030A4: BED40018
	s_mov_b32 s85, s25                                         // 0000000030A8: BED50019
	s_mov_b32 s86, s26                                         // 0000000030AC: BED6001A
	s_mov_b32 s87, s27                                         // 0000000030B0: BED7001B
	s_mul_i32 s60, s69, s65                                    // 0000000030B4: 923C4145
	s_add_u32 s84, s60, s84                                    // 0000000030B8: 8054543C
	s_addc_u32 s85, 0, s85                                     // 0000000030BC: 82555580
	v_lshrrev_b32_e32 v4, 4, v0                                // 0000000030C0: 20080084
	v_lshlrev_b32_e32 v5, 2, v4                                // 0000000030C4: 240A0882
	v_and_b32_e32 v4, 15, v0                                   // 0000000030C8: 2608008F
	v_lshrrev_b32_e32 v6, 2, v4                                // 0000000030CC: 200C0882
	v_lshlrev_b32_e32 v6, 6, v6                                // 0000000030D0: 240C0C86
	v_add_u32_e32 v5, v6, v5                                   // 0000000030D4: 680A0B06
	v_and_b32_e32 v4, 3, v0                                    // 0000000030D8: 26080083
	v_add_u32_e32 v5, v4, v5                                   // 0000000030DC: 680A0B04
	v_lshlrev_b32_e32 v22, 2, v5                               // 0000000030E0: 242C0A82
	v_add_u32_e32 v23, 0x400, v22                              // 0000000030E4: 682E2CFF 00000400
	s_mul_i32 s60, s7, 16                                      // 0000000030EC: 923C9007
	s_mul_i32 s60, s60, 4                                      // 0000000030F0: 923C843C
	v_add_u32_e32 v22, s60, v22                                // 0000000030F4: 682C2C3C
	v_add_u32_e32 v23, s60, v23                                // 0000000030F8: 682E2E3C
	s_mul_i32 s60, s2, 0x200                                   // 0000000030FC: 923CFF02 00000200
	s_mul_i32 s60, s60, 4                                      // 000000003104: 923C843C
	s_mul_i32 s61, s5, s74                                     // 000000003108: 923D4A05
	s_add_u32 s61, s61, s60                                    // 00000000310C: 803D3C3D
	s_add_u32 s32, s61, s32                                    // 000000003110: 8020203D
	s_addc_u32 s33, 0, s33                                     // 000000003114: 82212180
	s_mov_b32 s57, 0x80                                        // 000000003118: BEB900FF 00000080
	s_mov_b32 s58, 0x800                                       // 000000003120: BEBA00FF 00000800
	s_mov_b32 s83, s58                                         // 000000003128: BED3003A
	s_mov_b32 s52, 0x7060302                                   // 00000000312C: BEB400FF 07060302
	s_mov_b32 s53, 0x400                                       // 000000003134: BEB500FF 00000400
	s_mov_b32 s54, 0x40100                                     // 00000000313C: BEB600FF 00040100
	s_mov_b32 s55, 0x4020100                                   // 000000003144: BEB700FF 04020100
	s_mov_b32 s6, 0x3fb8aa3b                                   // 00000000314C: BE8600FF 3FB8AA3B
	s_mov_b32 s78, 0xbd92220c                                  // 000000003154: BECE00FF BD92220C
	s_mov_b32 s79, 0xbd92220c                                  // 00000000315C: BECF00FF BD92220C
	s_mov_b32 m0, s48                                          // 000000003164: BEFC0030
	v_mov_b32_e32 v1, 0xbfcc4231                               // 000000003168: 7E0202FF BFCC4231
	v_mov_b32_e32 v17, 0xffff0000                              // 000000003170: 7E2202FF FFFF0000
	v_mov_b32_e32 v18, 0x7fff0000                              // 000000003178: 7E2402FF 7FFF0000
	v_mov_b32_e32 v19, 0x7fff                                  // 000000003180: 7E2602FF 00007FFF
	s_waitcnt vmcnt(0) expcnt(0) lgkmcnt(0)                    // 000000003188: BF8C0000
	v_lshrrev_b32_e32 v4, 5, v0                                // 00000000318C: 20080085
	v_xor_b32_e32 v5, 1, v4                                    // 000000003190: 2A0A0881
	v_readlane_b32 s82, v3, 0                                  // 000000003194: D2890052 00010103
	s_and_b32 s82, s82, 0xffffff                               // 00000000319C: 8652FF52 00FFFFFF
	v_mul_lo_u32 v6, v5, s82                                   // 0000000031A4: D2850006 0000A505
	v_readlane_b32 s82, v3, 1                                  // 0000000031AC: D2890052 00010303
	s_and_b32 s82, s82, 0xffffff                               // 0000000031B4: 8652FF52 00FFFFFF
	v_mul_lo_u32 v7, v4, s82                                   // 0000000031BC: D2850007 0000A504
	v_add_u32_e32 v41, v6, v7                                  // 0000000031C4: 68520F06
	v_mul_lo_u32 v41, v41, s68                                 // 0000000031C8: D2850029 00008929
	v_readlane_b32 s82, v3, 2                                  // 0000000031D0: D2890052 00010503
	s_and_b32 s82, s82, 0xffffff                               // 0000000031D8: 8652FF52 00FFFFFF
	v_mul_lo_u32 v6, v5, s82                                   // 0000000031E0: D2850006 0000A505
	v_readlane_b32 s82, v3, 3                                  // 0000000031E8: D2890052 00010703
	s_and_b32 s82, s82, 0xffffff                               // 0000000031F0: 8652FF52 00FFFFFF
	v_mul_lo_u32 v7, v4, s82                                   // 0000000031F8: D2850007 0000A504
	v_add_u32_e32 v42, v6, v7                                  // 000000003200: 68540F06
	v_mul_lo_u32 v42, v42, s68                                 // 000000003204: D285002A 0000892A
	v_readlane_b32 s82, v3, 4                                  // 00000000320C: D2890052 00010903
	s_and_b32 s82, s82, 0xffffff                               // 000000003214: 8652FF52 00FFFFFF
	v_mul_lo_u32 v6, v5, s82                                   // 00000000321C: D2850006 0000A505
	v_readlane_b32 s82, v3, 5                                  // 000000003224: D2890052 00010B03
	s_and_b32 s82, s82, 0xffffff                               // 00000000322C: 8652FF52 00FFFFFF
	v_mul_lo_u32 v7, v4, s82                                   // 000000003234: D2850007 0000A504
	v_add_u32_e32 v43, v6, v7                                  // 00000000323C: 68560F06
	v_mul_lo_u32 v43, v43, s68                                 // 000000003240: D285002B 0000892B
	v_readlane_b32 s82, v3, 6                                  // 000000003248: D2890052 00010D03
	s_and_b32 s82, s82, 0xffffff                               // 000000003250: 8652FF52 00FFFFFF
	v_mul_lo_u32 v6, v5, s82                                   // 000000003258: D2850006 0000A505
	v_readlane_b32 s82, v3, 7                                  // 000000003260: D2890052 00010F03
	s_and_b32 s82, s82, 0xffffff                               // 000000003268: 8652FF52 00FFFFFF
	v_mul_lo_u32 v7, v4, s82                                   // 000000003270: D2850007 0000A504
	v_add_u32_e32 v44, v6, v7                                  // 000000003278: 68580F06
	v_mul_lo_u32 v44, v44, s68                                 // 00000000327C: D285002C 0000892C
	v_readlane_b32 s82, v3, 8                                  // 000000003284: D2890052 00011103
	s_and_b32 s82, s82, 0xffffff                               // 00000000328C: 8652FF52 00FFFFFF
	v_mul_lo_u32 v6, v5, s82                                   // 000000003294: D2850006 0000A505
	v_readlane_b32 s82, v3, 9                                  // 00000000329C: D2890052 00011303
	s_and_b32 s82, s82, 0xffffff                               // 0000000032A4: 8652FF52 00FFFFFF
	v_mul_lo_u32 v7, v4, s82                                   // 0000000032AC: D2850007 0000A504
	v_add_u32_e32 v45, v6, v7                                  // 0000000032B4: 685A0F06
	v_mul_lo_u32 v45, v45, s68                                 // 0000000032B8: D285002D 0000892D
	v_readlane_b32 s82, v3, 10                                 // 0000000032C0: D2890052 00011503
	s_and_b32 s82, s82, 0xffffff                               // 0000000032C8: 8652FF52 00FFFFFF
	v_mul_lo_u32 v6, v5, s82                                   // 0000000032D0: D2850006 0000A505
	v_readlane_b32 s82, v3, 11                                 // 0000000032D8: D2890052 00011703
	s_and_b32 s82, s82, 0xffffff                               // 0000000032E0: 8652FF52 00FFFFFF
	v_mul_lo_u32 v7, v4, s82                                   // 0000000032E8: D2850007 0000A504
	v_add_u32_e32 v46, v6, v7                                  // 0000000032F0: 685C0F06
	v_mul_lo_u32 v46, v46, s68                                 // 0000000032F4: D285002E 0000892E
	v_and_b32_e32 v4, 31, v0                                   // 0000000032FC: 2608009F
	v_lshlrev_b32_e32 v4, 2, v4                                // 000000003300: 24080882
	v_add_u32_e32 v41, v41, v4                                 // 000000003304: 68520929
	v_add_u32_e32 v42, v42, v4                                 // 000000003308: 6854092A
	v_add_u32_e32 v43, v43, v4                                 // 00000000330C: 6856092B
	v_add_u32_e32 v44, v44, v4                                 // 000000003310: 6858092C
	v_add_u32_e32 v45, v45, v4                                 // 000000003314: 685A092D
	v_add_u32_e32 v46, v46, v4                                 // 000000003318: 685C092E
	v_and_b32_e32 v29, 0xffffff, v29                           // 00000000331C: 263A3AFF 00FFFFFF
	v_lshlrev_b32_e32 v29, 2, v29                              // 000000003324: 243A3A82
	v_and_b32_e32 v30, 0xffffff, v30                           // 000000003328: 263C3CFF 00FFFFFF
	v_lshlrev_b32_e32 v30, 2, v30                              // 000000003330: 243C3C82
	v_and_b32_e32 v31, 0xffffff, v31                           // 000000003334: 263E3EFF 00FFFFFF
	v_lshlrev_b32_e32 v31, 2, v31                              // 00000000333C: 243E3E82
	s_lshl_b32 s3, s66, 2                                      // 000000003340: 8E038242
	buffer_load_dword v32, v29, s[28:31], 0 offen              // 000000003344: E0501000 8007201D
	buffer_load_dword v33, v30, s[28:31], 0 offen              // 00000000334C: E0501000 8007211E
	buffer_load_dword v34, v31, s[28:31], 0 offen              // 000000003354: E0501000 8007221F
	buffer_load_dword v25, v22, s[32:35], 0 offen              // 00000000335C: E0501000 80081916
	buffer_load_dword v26, v23, s[32:35], 0 offen              // 000000003364: E0501000 80081A17
	s_mul_i32 s60, 4, s65                                      // 00000000336C: 923C4184
	s_add_u32 s32, s60, s32                                    // 000000003370: 8020203C
	s_addc_u32 s33, 0, s33                                     // 000000003374: 82212180
	buffer_load_dword v27, v22, s[32:35], 0 offen              // 000000003378: E0501000 80081B16
	buffer_load_dword v28, v23, s[32:35], 0 offen              // 000000003380: E0501000 80081C17
	buffer_load_dword v41, s[20:23], 0 offen lds               // 000000003388: E0511000 80050029
	s_add_u32 m0, 0x100, s48                                   // 000000003390: 807C30FF 00000100
	buffer_load_dword v42, s[20:23], 0 offen lds               // 000000003398: E0511000 8005002A
	s_add_u32 m0, 0x200, s48                                   // 0000000033A0: 807C30FF 00000200
	buffer_load_dword v43, s[20:23], 0 offen lds               // 0000000033A8: E0511000 8005002B
	s_add_u32 m0, 0x300, s48                                   // 0000000033B0: 807C30FF 00000300
	buffer_load_dword v44, s[20:23], 0 offen lds               // 0000000033B8: E0511000 8005002C
	s_add_u32 m0, 0x400, s48                                   // 0000000033C0: 807C30FF 00000400
	buffer_load_dword v45, s[20:23], 0 offen lds               // 0000000033C8: E0511000 8005002D
	s_add_u32 m0, 0x500, s48                                   // 0000000033D0: 807C30FF 00000500
	buffer_load_dword v46, s[20:23], 0 offen lds               // 0000000033D8: E0511000 8005002E
	s_add_u32 m0, 0, s49                                       // 0000000033E0: 807C3180
	s_add_u32 s20, s57, s20                                    // 0000000033E4: 80141439
	s_addc_u32 s21, 0, s21                                     // 0000000033E8: 82151580
	buffer_load_dword v41, s[20:23], 0 offen lds               // 0000000033EC: E0511000 80050029
	s_add_u32 m0, 0x100, s49                                   // 0000000033F4: 807C31FF 00000100
	buffer_load_dword v42, s[20:23], 0 offen lds               // 0000000033FC: E0511000 8005002A
	s_add_u32 m0, 0x200, s49                                   // 000000003404: 807C31FF 00000200
	buffer_load_dword v43, s[20:23], 0 offen lds               // 00000000340C: E0511000 8005002B
	s_add_u32 m0, 0x300, s49                                   // 000000003414: 807C31FF 00000300
	buffer_load_dword v44, s[20:23], 0 offen lds               // 00000000341C: E0511000 8005002C
	s_add_u32 m0, 0x400, s49                                   // 000000003424: 807C31FF 00000400
	buffer_load_dword v45, s[20:23], 0 offen lds               // 00000000342C: E0511000 8005002D
	s_add_u32 m0, 0x500, s49                                   // 000000003434: 807C31FF 00000500
	buffer_load_dword v46, s[20:23], 0 offen lds               // 00000000343C: E0511000 8005002E
	s_add_u32 m0, 0, s48                                       // 000000003444: 807C3080
	s_add_u32 s20, s57, s20                                    // 000000003448: 80141439
	s_addc_u32 s21, 0, s21                                     // 00000000344C: 82151580
	buffer_load_dwordx4 a[48:51], v47, s[24:27], 0 offen       // 000000003450: E05C1000 8086302F
	buffer_load_dwordx4 a[52:55], v47, s[24:27], 0 offen offset:1024// 000000003458: E05C1400 8086342F
	buffer_load_dwordx4 a[56:59], v48, s[24:27], 0 offen       // 000000003460: E05C1000 80863830
	buffer_load_dwordx4 a[60:63], v48, s[24:27], 0 offen offset:1024// 000000003468: E05C1400 80863C30
	buffer_load_dwordx4 a[64:67], v49, s[24:27], 0 offen       // 000000003470: E05C1000 80864031
	buffer_load_dwordx4 a[68:71], v49, s[24:27], 0 offen offset:1024// 000000003478: E05C1400 80864431
	buffer_load_dwordx4 a[72:75], v50, s[24:27], 0 offen       // 000000003480: E05C1000 80864832
	buffer_load_dwordx4 a[76:79], v50, s[24:27], 0 offen offset:1024// 000000003488: E05C1400 80864C32
	buffer_load_dwordx4 a[80:83], v51, s[24:27], 0 offen       // 000000003490: E05C1000 80865033
	buffer_load_dwordx4 a[84:87], v51, s[24:27], 0 offen offset:1024// 000000003498: E05C1400 80865433
	buffer_load_dwordx4 a[88:91], v52, s[24:27], 0 offen       // 0000000034A0: E05C1000 80865834
	buffer_load_dwordx4 a[92:95], v52, s[24:27], 0 offen offset:1024// 0000000034A8: E05C1400 80865C34
	buffer_load_dwordx4 a[96:99], v53, s[24:27], 0 offen       // 0000000034B0: E05C1000 80866035
	buffer_load_dwordx4 a[100:103], v53, s[24:27], 0 offen offset:1024// 0000000034B8: E05C1400 80866435
	buffer_load_dwordx4 a[104:107], v54, s[24:27], 0 offen     // 0000000034C0: E05C1000 80866836
	buffer_load_dwordx4 a[108:111], v54, s[24:27], 0 offen offset:1024// 0000000034C8: E05C1400 80866C36
	s_add_u32 s24, s58, s24                                    // 0000000034D0: 8018183A
	s_addc_u32 s25, 0, s25                                     // 0000000034D4: 82191980
	s_waitcnt vmcnt(22)                                        // 0000000034D8: BF8C4F76
	s_barrier                                                  // 0000000034DC: BF8A0000
	ds_read_b128 a[0:3], v2                                    // 0000000034E0: DBFE0000 00000002
	ds_read_b128 a[4:7], v2 offset:64                          // 0000000034E8: DBFE0040 04000002
	ds_read_b128 a[8:11], v2 offset:512                        // 0000000034F0: DBFE0200 08000002
	ds_read_b128 a[12:15], v2 offset:576                       // 0000000034F8: DBFE0240 0C000002
	ds_read_b128 a[16:19], v2 offset:1024                      // 000000003500: DBFE0400 10000002
	ds_read_b128 a[20:23], v2 offset:1088                      // 000000003508: DBFE0440 14000002
	s_cmp_lt_i32 s7, 2                                         // 000000003510: BF048207
	s_cbranch_scc0 label_1B19                                  // 000000003514: BF841850

0000000000003518 <label_02C6>:
	s_waitcnt vmcnt(14) lgkmcnt(0)                             // 000000003518: BF8C007E
	s_barrier                                                  // 00000000351C: BF8A0000
	v_mfma_i32_16x16x32_i8 v[56:59], a[48:49], a[0:1], v[56:59]// 000000003520: D3D70038 1CE20130
	v_mfma_i32_16x16x32_i8 v[56:59], a[50:51], a[2:3], v[56:59]// 000000003528: D3D70038 1CE20532
	buffer_load_dwordx4 a[112:115], v47, s[84:87], 0 offen     // 000000003530: E05C1000 8095702F
	v_mfma_i32_16x16x32_i8 v[56:59], a[52:53], a[4:5], v[56:59]// 000000003538: D3D70038 1CE20934
	v_mfma_i32_16x16x32_i8 v[56:59], a[54:55], a[6:7], v[56:59]// 000000003540: D3D70038 1CE20D36
	v_mfma_i32_16x16x32_i8 v[60:63], a[48:49], a[8:9], v[60:63]// 000000003548: D3D7003C 1CF21130
	v_mfma_i32_16x16x32_i8 v[60:63], a[50:51], a[10:11], v[60:63]// 000000003550: D3D7003C 1CF21532
	buffer_load_dwordx4 a[116:119], v47, s[84:87], 0 offen offset:1024// 000000003558: E05C1400 8095742F
	v_mfma_i32_16x16x32_i8 v[60:63], a[52:53], a[12:13], v[60:63]// 000000003560: D3D7003C 1CF21934
	v_mfma_i32_16x16x32_i8 v[60:63], a[54:55], a[14:15], v[60:63]// 000000003568: D3D7003C 1CF21D36
	v_mfma_i32_16x16x32_i8 v[64:67], a[48:49], a[16:17], v[64:67]// 000000003570: D3D70040 1D022130
	v_mfma_i32_16x16x32_i8 v[64:67], a[50:51], a[18:19], v[64:67]// 000000003578: D3D70040 1D022532
	buffer_load_dwordx4 a[120:123], v48, s[84:87], 0 offen     // 000000003580: E05C1000 80957830
	v_mfma_i32_16x16x32_i8 v[64:67], a[52:53], a[20:21], v[64:67]// 000000003588: D3D70040 1D022934
	v_mfma_i32_16x16x32_i8 v[64:67], a[54:55], a[22:23], v[64:67]// 000000003590: D3D70040 1D022D36
	s_waitcnt vmcnt(15)                                        // 000000003598: BF8C0F7F
	v_mfma_i32_16x16x32_i8 v[68:71], a[56:57], a[0:1], v[68:71]// 00000000359C: D3D70044 1D120138
	v_mfma_i32_16x16x32_i8 v[68:71], a[58:59], a[2:3], v[68:71]// 0000000035A4: D3D70044 1D12053A
	buffer_load_dwordx4 a[124:127], v48, s[84:87], 0 offen offset:1024// 0000000035AC: E05C1400 80957C30
	v_mfma_i32_16x16x32_i8 v[68:71], a[60:61], a[4:5], v[68:71]// 0000000035B4: D3D70044 1D12093C
	v_mfma_i32_16x16x32_i8 v[68:71], a[62:63], a[6:7], v[68:71]// 0000000035BC: D3D70044 1D120D3E
	v_mfma_i32_16x16x32_i8 v[72:75], a[56:57], a[8:9], v[72:75]// 0000000035C4: D3D70048 1D221138
	v_mfma_i32_16x16x32_i8 v[72:75], a[58:59], a[10:11], v[72:75]// 0000000035CC: D3D70048 1D22153A
	buffer_load_dwordx4 a[128:131], v49, s[84:87], 0 offen     // 0000000035D4: E05C1000 80958031
	v_mfma_i32_16x16x32_i8 v[72:75], a[60:61], a[12:13], v[72:75]// 0000000035DC: D3D70048 1D22193C
	v_mfma_i32_16x16x32_i8 v[72:75], a[62:63], a[14:15], v[72:75]// 0000000035E4: D3D70048 1D221D3E
	v_mfma_i32_16x16x32_i8 v[76:79], a[56:57], a[16:17], v[76:79]// 0000000035EC: D3D7004C 1D322138
	v_mfma_i32_16x16x32_i8 v[76:79], a[58:59], a[18:19], v[76:79]// 0000000035F4: D3D7004C 1D32253A
	buffer_load_dwordx4 a[132:135], v49, s[84:87], 0 offen offset:1024// 0000000035FC: E05C1400 80958431
	v_mfma_i32_16x16x32_i8 v[76:79], a[60:61], a[20:21], v[76:79]// 000000003604: D3D7004C 1D32293C
	v_mfma_i32_16x16x32_i8 v[76:79], a[62:63], a[22:23], v[76:79]// 00000000360C: D3D7004C 1D322D3E
	s_waitcnt vmcnt(16)                                        // 000000003614: BF8C4F70
	v_mfma_i32_16x16x32_i8 v[80:83], a[64:65], a[0:1], v[80:83]// 000000003618: D3D70050 1D420140
	v_mfma_i32_16x16x32_i8 v[80:83], a[66:67], a[2:3], v[80:83]// 000000003620: D3D70050 1D420542
	buffer_load_dwordx4 a[136:139], v50, s[84:87], 0 offen     // 000000003628: E05C1000 80958832
	v_mfma_i32_16x16x32_i8 v[80:83], a[68:69], a[4:5], v[80:83]// 000000003630: D3D70050 1D420944
	v_mfma_i32_16x16x32_i8 v[80:83], a[70:71], a[6:7], v[80:83]// 000000003638: D3D70050 1D420D46
	v_mfma_i32_16x16x32_i8 v[84:87], a[64:65], a[8:9], v[84:87]// 000000003640: D3D70054 1D521140
	v_mfma_i32_16x16x32_i8 v[84:87], a[66:67], a[10:11], v[84:87]// 000000003648: D3D70054 1D521542
	buffer_load_dwordx4 a[140:143], v50, s[84:87], 0 offen offset:1024// 000000003650: E05C1400 80958C32
	v_mfma_i32_16x16x32_i8 v[84:87], a[68:69], a[12:13], v[84:87]// 000000003658: D3D70054 1D521944
	v_mfma_i32_16x16x32_i8 v[84:87], a[70:71], a[14:15], v[84:87]// 000000003660: D3D70054 1D521D46
	v_mfma_i32_16x16x32_i8 v[88:91], a[64:65], a[16:17], v[88:91]// 000000003668: D3D70058 1D622140
	v_mfma_i32_16x16x32_i8 v[88:91], a[66:67], a[18:19], v[88:91]// 000000003670: D3D70058 1D622542
	buffer_load_dwordx4 a[144:147], v51, s[84:87], 0 offen     // 000000003678: E05C1000 80959033
	v_mfma_i32_16x16x32_i8 v[88:91], a[68:69], a[20:21], v[88:91]// 000000003680: D3D70058 1D622944
	v_mfma_i32_16x16x32_i8 v[88:91], a[70:71], a[22:23], v[88:91]// 000000003688: D3D70058 1D622D46
	s_waitcnt vmcnt(17)                                        // 000000003690: BF8C4F71
	v_mfma_i32_16x16x32_i8 v[92:95], a[72:73], a[0:1], v[92:95]// 000000003694: D3D7005C 1D720148
	v_mfma_i32_16x16x32_i8 v[92:95], a[74:75], a[2:3], v[92:95]// 00000000369C: D3D7005C 1D72054A
	buffer_load_dwordx4 a[148:151], v51, s[84:87], 0 offen offset:1024// 0000000036A4: E05C1400 80959433
	v_mfma_i32_16x16x32_i8 v[92:95], a[76:77], a[4:5], v[92:95]// 0000000036AC: D3D7005C 1D72094C
	v_mfma_i32_16x16x32_i8 v[92:95], a[78:79], a[6:7], v[92:95]// 0000000036B4: D3D7005C 1D720D4E
	v_mfma_i32_16x16x32_i8 v[96:99], a[72:73], a[8:9], v[96:99]// 0000000036BC: D3D70060 1D821148
	v_mfma_i32_16x16x32_i8 v[96:99], a[74:75], a[10:11], v[96:99]// 0000000036C4: D3D70060 1D82154A
	buffer_load_dwordx4 a[152:155], v52, s[84:87], 0 offen     // 0000000036CC: E05C1000 80959834
	v_mfma_i32_16x16x32_i8 v[96:99], a[76:77], a[12:13], v[96:99]// 0000000036D4: D3D70060 1D82194C
	v_mfma_i32_16x16x32_i8 v[96:99], a[78:79], a[14:15], v[96:99]// 0000000036DC: D3D70060 1D821D4E
	v_mfma_i32_16x16x32_i8 v[100:103], a[72:73], a[16:17], v[100:103]// 0000000036E4: D3D70064 1D922148
	v_mfma_i32_16x16x32_i8 v[100:103], a[74:75], a[18:19], v[100:103]// 0000000036EC: D3D70064 1D92254A
	buffer_load_dwordx4 a[156:159], v52, s[84:87], 0 offen offset:1024// 0000000036F4: E05C1400 80959C34
	v_mfma_i32_16x16x32_i8 v[100:103], a[76:77], a[20:21], v[100:103]// 0000000036FC: D3D70064 1D92294C
	v_mfma_i32_16x16x32_i8 v[100:103], a[78:79], a[22:23], v[100:103]// 000000003704: D3D70064 1D922D4E
	s_waitcnt vmcnt(18)                                        // 00000000370C: BF8C4F72
	v_mfma_i32_16x16x32_i8 v[104:107], a[80:81], a[0:1], v[104:107]// 000000003710: D3D70068 1DA20150
	v_mfma_i32_16x16x32_i8 v[104:107], a[82:83], a[2:3], v[104:107]// 000000003718: D3D70068 1DA20552
	buffer_load_dwordx4 a[160:163], v53, s[84:87], 0 offen     // 000000003720: E05C1000 8095A035
	v_mfma_i32_16x16x32_i8 v[104:107], a[84:85], a[4:5], v[104:107]// 000000003728: D3D70068 1DA20954
	v_mfma_i32_16x16x32_i8 v[104:107], a[86:87], a[6:7], v[104:107]// 000000003730: D3D70068 1DA20D56
	v_mfma_i32_16x16x32_i8 v[108:111], a[80:81], a[8:9], v[108:111]// 000000003738: D3D7006C 1DB21150
	v_mfma_i32_16x16x32_i8 v[108:111], a[82:83], a[10:11], v[108:111]// 000000003740: D3D7006C 1DB21552
	buffer_load_dwordx4 a[164:167], v53, s[84:87], 0 offen offset:1024// 000000003748: E05C1400 8095A435
	v_mfma_i32_16x16x32_i8 v[108:111], a[84:85], a[12:13], v[108:111]// 000000003750: D3D7006C 1DB21954
	v_mfma_i32_16x16x32_i8 v[108:111], a[86:87], a[14:15], v[108:111]// 000000003758: D3D7006C 1DB21D56
	v_mfma_i32_16x16x32_i8 v[112:115], a[80:81], a[16:17], v[112:115]// 000000003760: D3D70070 1DC22150
	v_mfma_i32_16x16x32_i8 v[112:115], a[82:83], a[18:19], v[112:115]// 000000003768: D3D70070 1DC22552
	buffer_load_dwordx4 a[168:171], v54, s[84:87], 0 offen     // 000000003770: E05C1000 8095A836
	v_mfma_i32_16x16x32_i8 v[112:115], a[84:85], a[20:21], v[112:115]// 000000003778: D3D70070 1DC22954
	v_mfma_i32_16x16x32_i8 v[112:115], a[86:87], a[22:23], v[112:115]// 000000003780: D3D70070 1DC22D56
	s_waitcnt vmcnt(19)                                        // 000000003788: BF8C4F73
	v_mfma_i32_16x16x32_i8 v[116:119], a[88:89], a[0:1], v[116:119]// 00000000378C: D3D70074 1DD20158
	v_mfma_i32_16x16x32_i8 v[116:119], a[90:91], a[2:3], v[116:119]// 000000003794: D3D70074 1DD2055A
	buffer_load_dwordx4 a[172:175], v54, s[84:87], 0 offen offset:1024// 00000000379C: E05C1400 8095AC36
	buffer_load_dword v41, s[20:23], 0 offen lds               // 0000000037A4: E0511000 80050029
	s_add_u32 m0, 0x100, s48                                   // 0000000037AC: 807C30FF 00000100
	v_mfma_i32_16x16x32_i8 v[116:119], a[92:93], a[4:5], v[116:119]// 0000000037B4: D3D70074 1DD2095C
	v_mfma_i32_16x16x32_i8 v[116:119], a[94:95], a[6:7], v[116:119]// 0000000037BC: D3D70074 1DD20D5E
	buffer_load_dword v42, s[20:23], 0 offen lds               // 0000000037C4: E0511000 8005002A
	s_add_u32 m0, 0x200, s48                                   // 0000000037CC: 807C30FF 00000200
	v_mfma_i32_16x16x32_i8 v[120:123], a[88:89], a[8:9], v[120:123]// 0000000037D4: D3D70078 1DE21158
	v_mfma_i32_16x16x32_i8 v[120:123], a[90:91], a[10:11], v[120:123]// 0000000037DC: D3D70078 1DE2155A
	buffer_load_dword v43, s[20:23], 0 offen lds               // 0000000037E4: E0511000 8005002B
	s_add_u32 m0, 0x300, s48                                   // 0000000037EC: 807C30FF 00000300
	v_mfma_i32_16x16x32_i8 v[120:123], a[92:93], a[12:13], v[120:123]// 0000000037F4: D3D70078 1DE2195C
	v_mfma_i32_16x16x32_i8 v[120:123], a[94:95], a[14:15], v[120:123]// 0000000037FC: D3D70078 1DE21D5E
	buffer_load_dword v44, s[20:23], 0 offen lds               // 000000003804: E0511000 8005002C
	s_add_u32 m0, 0x400, s48                                   // 00000000380C: 807C30FF 00000400
	v_mfma_i32_16x16x32_i8 v[124:127], a[88:89], a[16:17], v[124:127]// 000000003814: D3D7007C 1DF22158
	v_mfma_i32_16x16x32_i8 v[124:127], a[90:91], a[18:19], v[124:127]// 00000000381C: D3D7007C 1DF2255A
	buffer_load_dword v45, s[20:23], 0 offen lds               // 000000003824: E0511000 8005002D
	s_add_u32 m0, 0x500, s48                                   // 00000000382C: 807C30FF 00000500
	v_mfma_i32_16x16x32_i8 v[124:127], a[92:93], a[20:21], v[124:127]// 000000003834: D3D7007C 1DF2295C
	v_mfma_i32_16x16x32_i8 v[124:127], a[94:95], a[22:23], v[124:127]// 00000000383C: D3D7007C 1DF22D5E
	buffer_load_dword v46, s[20:23], 0 offen lds               // 000000003844: E0511000 8005002E
	s_add_u32 m0, 0, s49                                       // 00000000384C: 807C3180
	s_waitcnt vmcnt(24)                                        // 000000003850: BF8C4F78
	v_mfma_i32_16x16x32_i8 v[128:131], a[96:97], a[0:1], v[128:131]// 000000003854: D3D70080 1E020160
	v_mfma_i32_16x16x32_i8 v[128:131], a[98:99], a[2:3], v[128:131]// 00000000385C: D3D70080 1E020562
	v_mfma_i32_16x16x32_i8 v[128:131], a[100:101], a[4:5], v[128:131]// 000000003864: D3D70080 1E020964
	v_mfma_i32_16x16x32_i8 v[128:131], a[102:103], a[6:7], v[128:131]// 00000000386C: D3D70080 1E020D66
	v_mfma_i32_16x16x32_i8 v[132:135], a[96:97], a[8:9], v[132:135]// 000000003874: D3D70084 1E121160
	v_mfma_i32_16x16x32_i8 v[132:135], a[98:99], a[10:11], v[132:135]// 00000000387C: D3D70084 1E121562
	v_mfma_i32_16x16x32_i8 v[132:135], a[100:101], a[12:13], v[132:135]// 000000003884: D3D70084 1E121964
	v_mfma_i32_16x16x32_i8 v[132:135], a[102:103], a[14:15], v[132:135]// 00000000388C: D3D70084 1E121D66
	v_mfma_i32_16x16x32_i8 v[136:139], a[96:97], a[16:17], v[136:139]// 000000003894: D3D70088 1E222160
	v_mfma_i32_16x16x32_i8 v[136:139], a[98:99], a[18:19], v[136:139]// 00000000389C: D3D70088 1E222562
	v_mfma_i32_16x16x32_i8 v[136:139], a[100:101], a[20:21], v[136:139]// 0000000038A4: D3D70088 1E222964
	v_mfma_i32_16x16x32_i8 v[136:139], a[102:103], a[22:23], v[136:139]// 0000000038AC: D3D70088 1E222D66
	s_waitcnt vmcnt(22)                                        // 0000000038B4: BF8C4F76
	v_mfma_i32_16x16x32_i8 v[140:143], a[104:105], a[0:1], v[140:143]// 0000000038B8: D3D7008C 1E320168
	v_mfma_i32_16x16x32_i8 v[140:143], a[106:107], a[2:3], v[140:143]// 0000000038C0: D3D7008C 1E32056A
	v_mfma_i32_16x16x32_i8 v[140:143], a[108:109], a[4:5], v[140:143]// 0000000038C8: D3D7008C 1E32096C
	v_mfma_i32_16x16x32_i8 v[140:143], a[110:111], a[6:7], v[140:143]// 0000000038D0: D3D7008C 1E320D6E
	v_mfma_i32_16x16x32_i8 v[144:147], a[104:105], a[8:9], v[144:147]// 0000000038D8: D3D70090 1E421168
	v_mfma_i32_16x16x32_i8 v[144:147], a[106:107], a[10:11], v[144:147]// 0000000038E0: D3D70090 1E42156A
	v_mfma_i32_16x16x32_i8 v[144:147], a[108:109], a[12:13], v[144:147]// 0000000038E8: D3D70090 1E42196C
	v_mfma_i32_16x16x32_i8 v[144:147], a[110:111], a[14:15], v[144:147]// 0000000038F0: D3D70090 1E421D6E
	v_mfma_i32_16x16x32_i8 v[148:151], a[104:105], a[16:17], v[148:151]// 0000000038F8: D3D70094 1E522168
	v_mfma_i32_16x16x32_i8 v[148:151], a[106:107], a[18:19], v[148:151]// 000000003900: D3D70094 1E52256A
	s_add_u32 s60, 0x80, s80                                   // 000000003908: 803C50FF 00000080
	s_cmp_lt_u32 s60, s81                                      // 000000003910: BF0A513C
	s_cselect_b32 s83, s83, 0                                  // 000000003914: 85538053
	v_mfma_i32_16x16x32_i8 v[148:151], a[108:109], a[20:21], v[148:151]// 000000003918: D3D70094 1E52296C
	v_mfma_i32_16x16x32_i8 v[148:151], a[110:111], a[22:23], v[148:151]// 000000003920: D3D70094 1E522D6E
	s_waitcnt vmcnt(6)                                         // 000000003928: BF8C0F76
	v_mfma_i32_16x16x32_i8 v[152:155], a[112:113], a[0:1], v[152:155]// 00000000392C: D3D70098 1E620170
	v_mfma_i32_16x16x32_i8 v[152:155], a[114:115], a[2:3], v[152:155]// 000000003934: D3D70098 1E620572
	buffer_load_dwordx4 a[48:51], v47, s[24:27], 0 offen       // 00000000393C: E05C1000 8086302F
	v_mfma_i32_16x16x32_i8 v[152:155], a[116:117], a[4:5], v[152:155]// 000000003944: D3D70098 1E620974
	v_mfma_i32_16x16x32_i8 v[152:155], a[118:119], a[6:7], v[152:155]// 00000000394C: D3D70098 1E620D76
	ds_read_b128 a[24:27], v2 offset:6272                      // 000000003954: DBFE1880 18000002
	ds_read_b128 a[28:31], v2 offset:6336                      // 00000000395C: DBFE18C0 1C000002
	v_mfma_i32_16x16x32_i8 v[164:167], a[120:121], a[0:1], v[164:167]// 000000003964: D3D700A4 1E920178
	v_mfma_i32_16x16x32_i8 v[164:167], a[122:123], a[2:3], v[164:167]// 00000000396C: D3D700A4 1E92057A
	buffer_load_dwordx4 a[52:55], v47, s[24:27], 0 offen offset:1024// 000000003974: E05C1400 8086342F
	v_mfma_i32_16x16x32_i8 v[164:167], a[124:125], a[4:5], v[164:167]// 00000000397C: D3D700A4 1E92097C
	v_mfma_i32_16x16x32_i8 v[164:167], a[126:127], a[6:7], v[164:167]// 000000003984: D3D700A4 1E920D7E
	ds_read_b128 a[32:35], v2 offset:6784                      // 00000000398C: DBFE1A80 20000002
	ds_read_b128 a[36:39], v2 offset:6848                      // 000000003994: DBFE1AC0 24000002
	v_mfma_i32_16x16x32_i8 v[176:179], a[128:129], a[0:1], v[176:179]// 00000000399C: D3D700B0 1EC20180
	v_mfma_i32_16x16x32_i8 v[176:179], a[130:131], a[2:3], v[176:179]// 0000000039A4: D3D700B0 1EC20582
	buffer_load_dwordx4 a[56:59], v48, s[24:27], 0 offen       // 0000000039AC: E05C1000 80863830
	v_mfma_i32_16x16x32_i8 v[176:179], a[132:133], a[4:5], v[176:179]// 0000000039B4: D3D700B0 1EC20984
	v_mfma_i32_16x16x32_i8 v[176:179], a[134:135], a[6:7], v[176:179]// 0000000039BC: D3D700B0 1EC20D86
	ds_read_b128 a[40:43], v2 offset:7296                      // 0000000039C4: DBFE1C80 28000002
	ds_read_b128 a[44:47], v2 offset:7360                      // 0000000039CC: DBFE1CC0 2C000002
	v_mfma_i32_16x16x32_i8 v[188:191], a[136:137], a[0:1], v[188:191]// 0000000039D4: D3D700BC 1EF20188
	v_mfma_i32_16x16x32_i8 v[188:191], a[138:139], a[2:3], v[188:191]// 0000000039DC: D3D700BC 1EF2058A
	buffer_load_dwordx4 a[60:63], v48, s[24:27], 0 offen offset:1024// 0000000039E4: E05C1400 80863C30
	v_mfma_i32_16x16x32_i8 v[188:191], a[140:141], a[4:5], v[188:191]// 0000000039EC: D3D700BC 1EF2098C
	v_mfma_i32_16x16x32_i8 v[188:191], a[142:143], a[6:7], v[188:191]// 0000000039F4: D3D700BC 1EF20D8E
	v_mfma_i32_16x16x32_i8 v[200:203], a[144:145], a[0:1], v[200:203]// 0000000039FC: D3D700C8 1F220190
	v_mfma_i32_16x16x32_i8 v[200:203], a[146:147], a[2:3], v[200:203]// 000000003A04: D3D700C8 1F220592
	buffer_load_dwordx4 a[64:67], v49, s[24:27], 0 offen       // 000000003A0C: E05C1000 80864031
	v_mfma_i32_16x16x32_i8 v[200:203], a[148:149], a[4:5], v[200:203]// 000000003A14: D3D700C8 1F220994
	v_mfma_i32_16x16x32_i8 v[200:203], a[150:151], a[6:7], v[200:203]// 000000003A1C: D3D700C8 1F220D96
	v_mfma_i32_16x16x32_i8 v[212:215], a[152:153], a[0:1], v[212:215]// 000000003A24: D3D700D4 1F520198
	v_mfma_i32_16x16x32_i8 v[212:215], a[154:155], a[2:3], v[212:215]// 000000003A2C: D3D700D4 1F52059A
	buffer_load_dwordx4 a[68:71], v49, s[24:27], 0 offen offset:1024// 000000003A34: E05C1400 80864431
	v_mfma_i32_16x16x32_i8 v[212:215], a[156:157], a[4:5], v[212:215]// 000000003A3C: D3D700D4 1F52099C
	v_mfma_i32_16x16x32_i8 v[212:215], a[158:159], a[6:7], v[212:215]// 000000003A44: D3D700D4 1F520D9E
	v_mfma_i32_16x16x32_i8 v[224:227], a[160:161], a[0:1], v[224:227]// 000000003A4C: D3D700E0 1F8201A0
	v_mfma_i32_16x16x32_i8 v[224:227], a[162:163], a[2:3], v[224:227]// 000000003A54: D3D700E0 1F8205A2
	buffer_load_dwordx4 a[72:75], v50, s[24:27], 0 offen       // 000000003A5C: E05C1000 80864832
	v_mfma_i32_16x16x32_i8 v[224:227], a[164:165], a[4:5], v[224:227]// 000000003A64: D3D700E0 1F8209A4
	v_mfma_i32_16x16x32_i8 v[224:227], a[166:167], a[6:7], v[224:227]// 000000003A6C: D3D700E0 1F820DA6
	v_mfma_i32_16x16x32_i8 v[236:239], a[168:169], a[0:1], v[236:239]// 000000003A74: D3D700EC 1FB201A8
	v_mfma_i32_16x16x32_i8 v[236:239], a[170:171], a[2:3], v[236:239]// 000000003A7C: D3D700EC 1FB205AA
	buffer_load_dwordx4 a[76:79], v50, s[24:27], 0 offen offset:1024// 000000003A84: E05C1400 80864C32
	v_mfma_i32_16x16x32_i8 v[236:239], a[172:173], a[4:5], v[236:239]// 000000003A8C: D3D700EC 1FB209AC
	v_mfma_i32_16x16x32_i8 v[236:239], a[174:175], a[6:7], v[236:239]// 000000003A94: D3D700EC 1FB20DAE
	v_mfma_i32_16x16x32_i8 v[156:159], a[112:113], a[8:9], v[156:159]// 000000003A9C: D3D7009C 1E721170
	v_mfma_i32_16x16x32_i8 v[156:159], a[114:115], a[10:11], v[156:159]// 000000003AA4: D3D7009C 1E721572
	buffer_load_dwordx4 a[80:83], v51, s[24:27], 0 offen       // 000000003AAC: E05C1000 80865033
	v_mfma_i32_16x16x32_i8 v[156:159], a[116:117], a[12:13], v[156:159]// 000000003AB4: D3D7009C 1E721974
	v_mfma_i32_16x16x32_i8 v[156:159], a[118:119], a[14:15], v[156:159]// 000000003ABC: D3D7009C 1E721D76
	v_mfma_i32_16x16x32_i8 v[168:171], a[120:121], a[8:9], v[168:171]// 000000003AC4: D3D700A8 1EA21178
	v_mfma_i32_16x16x32_i8 v[168:171], a[122:123], a[10:11], v[168:171]// 000000003ACC: D3D700A8 1EA2157A
	buffer_load_dwordx4 a[84:87], v51, s[24:27], 0 offen offset:1024// 000000003AD4: E05C1400 80865433
	v_mfma_i32_16x16x32_i8 v[168:171], a[124:125], a[12:13], v[168:171]// 000000003ADC: D3D700A8 1EA2197C
	v_mfma_i32_16x16x32_i8 v[168:171], a[126:127], a[14:15], v[168:171]// 000000003AE4: D3D700A8 1EA21D7E
	v_mfma_i32_16x16x32_i8 v[180:183], a[128:129], a[8:9], v[180:183]// 000000003AEC: D3D700B4 1ED21180
	v_mfma_i32_16x16x32_i8 v[180:183], a[130:131], a[10:11], v[180:183]// 000000003AF4: D3D700B4 1ED21582
	buffer_load_dwordx4 a[88:91], v52, s[24:27], 0 offen       // 000000003AFC: E05C1000 80865834
	v_mfma_i32_16x16x32_i8 v[180:183], a[132:133], a[12:13], v[180:183]// 000000003B04: D3D700B4 1ED21984
	v_mfma_i32_16x16x32_i8 v[180:183], a[134:135], a[14:15], v[180:183]// 000000003B0C: D3D700B4 1ED21D86
	v_mfma_i32_16x16x32_i8 v[192:195], a[136:137], a[8:9], v[192:195]// 000000003B14: D3D700C0 1F021188
	v_mfma_i32_16x16x32_i8 v[192:195], a[138:139], a[10:11], v[192:195]// 000000003B1C: D3D700C0 1F02158A
	buffer_load_dwordx4 a[92:95], v52, s[24:27], 0 offen offset:1024// 000000003B24: E05C1400 80865C34
	v_mfma_i32_16x16x32_i8 v[192:195], a[140:141], a[12:13], v[192:195]// 000000003B2C: D3D700C0 1F02198C
	v_mfma_i32_16x16x32_i8 v[192:195], a[142:143], a[14:15], v[192:195]// 000000003B34: D3D700C0 1F021D8E
	v_mfma_i32_16x16x32_i8 v[204:207], a[144:145], a[8:9], v[204:207]// 000000003B3C: D3D700CC 1F321190
	v_mfma_i32_16x16x32_i8 v[204:207], a[146:147], a[10:11], v[204:207]// 000000003B44: D3D700CC 1F321592
	buffer_load_dwordx4 a[96:99], v53, s[24:27], 0 offen       // 000000003B4C: E05C1000 80866035
	v_mfma_i32_16x16x32_i8 v[204:207], a[148:149], a[12:13], v[204:207]// 000000003B54: D3D700CC 1F321994
	v_mfma_i32_16x16x32_i8 v[204:207], a[150:151], a[14:15], v[204:207]// 000000003B5C: D3D700CC 1F321D96
	v_mfma_i32_16x16x32_i8 v[216:219], a[152:153], a[8:9], v[216:219]// 000000003B64: D3D700D8 1F621198
	v_mfma_i32_16x16x32_i8 v[216:219], a[154:155], a[10:11], v[216:219]// 000000003B6C: D3D700D8 1F62159A
	buffer_load_dwordx4 a[100:103], v53, s[24:27], 0 offen offset:1024// 000000003B74: E05C1400 80866435
	v_mfma_i32_16x16x32_i8 v[216:219], a[156:157], a[12:13], v[216:219]// 000000003B7C: D3D700D8 1F62199C
	v_mfma_i32_16x16x32_i8 v[216:219], a[158:159], a[14:15], v[216:219]// 000000003B84: D3D700D8 1F621D9E
	v_mfma_i32_16x16x32_i8 v[228:231], a[160:161], a[8:9], v[228:231]// 000000003B8C: D3D700E4 1F9211A0
	v_mfma_i32_16x16x32_i8 v[228:231], a[162:163], a[10:11], v[228:231]// 000000003B94: D3D700E4 1F9215A2
	buffer_load_dwordx4 a[104:107], v54, s[24:27], 0 offen     // 000000003B9C: E05C1000 80866836
	v_mfma_i32_16x16x32_i8 v[228:231], a[164:165], a[12:13], v[228:231]// 000000003BA4: D3D700E4 1F9219A4
	v_mfma_i32_16x16x32_i8 v[228:231], a[166:167], a[14:15], v[228:231]// 000000003BAC: D3D700E4 1F921DA6
	v_mfma_i32_16x16x32_i8 v[240:243], a[168:169], a[8:9], v[240:243]// 000000003BB4: D3D700F0 1FC211A8
	v_mfma_i32_16x16x32_i8 v[240:243], a[170:171], a[10:11], v[240:243]// 000000003BBC: D3D700F0 1FC215AA
	buffer_load_dwordx4 a[108:111], v54, s[24:27], 0 offen offset:1024// 000000003BC4: E05C1400 80866C36
	v_mfma_i32_16x16x32_i8 v[240:243], a[172:173], a[12:13], v[240:243]// 000000003BCC: D3D700F0 1FC219AC
	v_mfma_i32_16x16x32_i8 v[240:243], a[174:175], a[14:15], v[240:243]// 000000003BD4: D3D700F0 1FC21DAE
	v_mfma_i32_16x16x32_i8 v[160:163], a[112:113], a[16:17], v[160:163]// 000000003BDC: D3D700A0 1E822170
	v_mfma_i32_16x16x32_i8 v[160:163], a[114:115], a[18:19], v[160:163]// 000000003BE4: D3D700A0 1E822572
	v_mfma_i32_16x16x32_i8 v[160:163], a[116:117], a[20:21], v[160:163]// 000000003BEC: D3D700A0 1E822974
	v_mfma_i32_16x16x32_i8 v[160:163], a[118:119], a[22:23], v[160:163]// 000000003BF4: D3D700A0 1E822D76
	v_mfma_i32_16x16x32_i8 v[172:175], a[120:121], a[16:17], v[172:175]// 000000003BFC: D3D700AC 1EB22178
	v_mfma_i32_16x16x32_i8 v[172:175], a[122:123], a[18:19], v[172:175]// 000000003C04: D3D700AC 1EB2257A
	v_mfma_i32_16x16x32_i8 v[172:175], a[124:125], a[20:21], v[172:175]// 000000003C0C: D3D700AC 1EB2297C
	v_mfma_i32_16x16x32_i8 v[172:175], a[126:127], a[22:23], v[172:175]// 000000003C14: D3D700AC 1EB22D7E
	v_mfma_i32_16x16x32_i8 v[184:187], a[128:129], a[16:17], v[184:187]// 000000003C1C: D3D700B8 1EE22180
	v_mfma_i32_16x16x32_i8 v[184:187], a[130:131], a[18:19], v[184:187]// 000000003C24: D3D700B8 1EE22582
	v_mfma_i32_16x16x32_i8 v[184:187], a[132:133], a[20:21], v[184:187]// 000000003C2C: D3D700B8 1EE22984
	v_mfma_i32_16x16x32_i8 v[184:187], a[134:135], a[22:23], v[184:187]// 000000003C34: D3D700B8 1EE22D86
	v_mfma_i32_16x16x32_i8 v[196:199], a[136:137], a[16:17], v[196:199]// 000000003C3C: D3D700C4 1F122188
	v_mfma_i32_16x16x32_i8 v[196:199], a[138:139], a[18:19], v[196:199]// 000000003C44: D3D700C4 1F12258A
	v_mfma_i32_16x16x32_i8 v[196:199], a[140:141], a[20:21], v[196:199]// 000000003C4C: D3D700C4 1F12298C
	v_mfma_i32_16x16x32_i8 v[196:199], a[142:143], a[22:23], v[196:199]// 000000003C54: D3D700C4 1F122D8E
	v_mfma_i32_16x16x32_i8 v[208:211], a[144:145], a[16:17], v[208:211]// 000000003C5C: D3D700D0 1F422190
	v_mfma_i32_16x16x32_i8 v[208:211], a[146:147], a[18:19], v[208:211]// 000000003C64: D3D700D0 1F422592
	v_mfma_i32_16x16x32_i8 v[208:211], a[148:149], a[20:21], v[208:211]// 000000003C6C: D3D700D0 1F422994
	v_mfma_i32_16x16x32_i8 v[208:211], a[150:151], a[22:23], v[208:211]// 000000003C74: D3D700D0 1F422D96
	v_mfma_i32_16x16x32_i8 v[220:223], a[152:153], a[16:17], v[220:223]// 000000003C7C: D3D700DC 1F722198
	v_mfma_i32_16x16x32_i8 v[220:223], a[154:155], a[18:19], v[220:223]// 000000003C84: D3D700DC 1F72259A
	v_mfma_i32_16x16x32_i8 v[220:223], a[156:157], a[20:21], v[220:223]// 000000003C8C: D3D700DC 1F72299C
	v_mfma_i32_16x16x32_i8 v[220:223], a[158:159], a[22:23], v[220:223]// 000000003C94: D3D700DC 1F722D9E
	v_mfma_i32_16x16x32_i8 v[232:235], a[160:161], a[16:17], v[232:235]// 000000003C9C: D3D700E8 1FA221A0
	v_mfma_i32_16x16x32_i8 v[232:235], a[162:163], a[18:19], v[232:235]// 000000003CA4: D3D700E8 1FA225A2
	v_mfma_i32_16x16x32_i8 v[232:235], a[164:165], a[20:21], v[232:235]// 000000003CAC: D3D700E8 1FA229A4
	s_add_u32 s60, 0x180, s80                                  // 000000003CB4: 803C50FF 00000180
	s_cmp_lt_u32 s60, s81                                      // 000000003CBC: BF0A513C
	s_cselect_b32 s57, s57, 0                                  // 000000003CC0: 85398039
	v_mfma_i32_16x16x32_i8 v[232:235], a[166:167], a[22:23], v[232:235]// 000000003CC4: D3D700E8 1FA22DA6
	s_add_u32 s60, 0x100, s80                                  // 000000003CCC: 803C50FF 00000100
	s_cmp_lt_u32 s60, s81                                      // 000000003CD4: BF0A513C
	s_cselect_b32 s58, s58, 0                                  // 000000003CD8: 853A803A
	v_mfma_i32_16x16x32_i8 v[244:247], a[168:169], a[16:17], v[244:247]// 000000003CDC: D3D700F4 1FD221A8
	s_add_u32 s24, s58, s24                                    // 000000003CE4: 8018183A
	s_addc_u32 s25, 0, s25                                     // 000000003CE8: 82191980
	v_mfma_i32_16x16x32_i8 v[244:247], a[170:171], a[18:19], v[244:247]// 000000003CEC: D3D700F4 1FD225AA
	s_add_u32 s20, s57, s20                                    // 000000003CF4: 80141439
	s_addc_u32 s21, 0, s21                                     // 000000003CF8: 82151580
	v_mfma_i32_16x16x32_i8 v[244:247], a[172:173], a[20:21], v[244:247]// 000000003CFC: D3D700F4 1FD229AC
	s_add_u32 s84, s83, s84                                    // 000000003D04: 80545453
	s_addc_u32 s85, 0, s85                                     // 000000003D08: 82555580
	v_mfma_i32_16x16x32_i8 v[244:247], a[174:175], a[22:23], v[244:247]// 000000003D0C: D3D700F4 1FD22DAE
	s_addk_i32 s80, 0x80                                       // 000000003D14: B7500080
	s_cmp_lt_i32 s80, s81                                      // 000000003D18: BF045150
	s_cbranch_scc0 label_06CB                                  // 000000003D1C: BF840203
	s_waitcnt vmcnt(14) lgkmcnt(0)                             // 000000003D20: BF8C007E
	s_barrier                                                  // 000000003D24: BF8A0000
	v_mfma_i32_16x16x32_i8 v[56:59], a[48:49], a[24:25], v[56:59]// 000000003D28: D3D70038 1CE23130
	v_mfma_i32_16x16x32_i8 v[56:59], a[50:51], a[26:27], v[56:59]// 000000003D30: D3D70038 1CE23532
	buffer_load_dwordx4 a[112:115], v47, s[84:87], 0 offen     // 000000003D38: E05C1000 8095702F
	v_mfma_i32_16x16x32_i8 v[56:59], a[52:53], a[28:29], v[56:59]// 000000003D40: D3D70038 1CE23934
	v_mfma_i32_16x16x32_i8 v[56:59], a[54:55], a[30:31], v[56:59]// 000000003D48: D3D70038 1CE23D36
	v_mfma_i32_16x16x32_i8 v[60:63], a[48:49], a[32:33], v[60:63]// 000000003D50: D3D7003C 1CF24130
	v_mfma_i32_16x16x32_i8 v[60:63], a[50:51], a[34:35], v[60:63]// 000000003D58: D3D7003C 1CF24532
	buffer_load_dwordx4 a[116:119], v47, s[84:87], 0 offen offset:1024// 000000003D60: E05C1400 8095742F
	v_mfma_i32_16x16x32_i8 v[60:63], a[52:53], a[36:37], v[60:63]// 000000003D68: D3D7003C 1CF24934
	v_mfma_i32_16x16x32_i8 v[60:63], a[54:55], a[38:39], v[60:63]// 000000003D70: D3D7003C 1CF24D36
	v_mfma_i32_16x16x32_i8 v[64:67], a[48:49], a[40:41], v[64:67]// 000000003D78: D3D70040 1D025130
	v_mfma_i32_16x16x32_i8 v[64:67], a[50:51], a[42:43], v[64:67]// 000000003D80: D3D70040 1D025532
	buffer_load_dwordx4 a[120:123], v48, s[84:87], 0 offen     // 000000003D88: E05C1000 80957830
	v_mfma_i32_16x16x32_i8 v[64:67], a[52:53], a[44:45], v[64:67]// 000000003D90: D3D70040 1D025934
	v_mfma_i32_16x16x32_i8 v[64:67], a[54:55], a[46:47], v[64:67]// 000000003D98: D3D70040 1D025D36
	s_waitcnt vmcnt(15)                                        // 000000003DA0: BF8C0F7F
	v_mfma_i32_16x16x32_i8 v[68:71], a[56:57], a[24:25], v[68:71]// 000000003DA4: D3D70044 1D123138
	v_mfma_i32_16x16x32_i8 v[68:71], a[58:59], a[26:27], v[68:71]// 000000003DAC: D3D70044 1D12353A
	buffer_load_dwordx4 a[124:127], v48, s[84:87], 0 offen offset:1024// 000000003DB4: E05C1400 80957C30
	v_mfma_i32_16x16x32_i8 v[68:71], a[60:61], a[28:29], v[68:71]// 000000003DBC: D3D70044 1D12393C
	v_mfma_i32_16x16x32_i8 v[68:71], a[62:63], a[30:31], v[68:71]// 000000003DC4: D3D70044 1D123D3E
	v_mfma_i32_16x16x32_i8 v[72:75], a[56:57], a[32:33], v[72:75]// 000000003DCC: D3D70048 1D224138
	v_mfma_i32_16x16x32_i8 v[72:75], a[58:59], a[34:35], v[72:75]// 000000003DD4: D3D70048 1D22453A
	buffer_load_dwordx4 a[128:131], v49, s[84:87], 0 offen     // 000000003DDC: E05C1000 80958031
	v_mfma_i32_16x16x32_i8 v[72:75], a[60:61], a[36:37], v[72:75]// 000000003DE4: D3D70048 1D22493C
	v_mfma_i32_16x16x32_i8 v[72:75], a[62:63], a[38:39], v[72:75]// 000000003DEC: D3D70048 1D224D3E
	v_mfma_i32_16x16x32_i8 v[76:79], a[56:57], a[40:41], v[76:79]// 000000003DF4: D3D7004C 1D325138
	v_mfma_i32_16x16x32_i8 v[76:79], a[58:59], a[42:43], v[76:79]// 000000003DFC: D3D7004C 1D32553A
	buffer_load_dwordx4 a[132:135], v49, s[84:87], 0 offen offset:1024// 000000003E04: E05C1400 80958431
	v_mfma_i32_16x16x32_i8 v[76:79], a[60:61], a[44:45], v[76:79]// 000000003E0C: D3D7004C 1D32593C
	v_mfma_i32_16x16x32_i8 v[76:79], a[62:63], a[46:47], v[76:79]// 000000003E14: D3D7004C 1D325D3E
	s_waitcnt vmcnt(16)                                        // 000000003E1C: BF8C4F70
	v_mfma_i32_16x16x32_i8 v[80:83], a[64:65], a[24:25], v[80:83]// 000000003E20: D3D70050 1D423140
	v_mfma_i32_16x16x32_i8 v[80:83], a[66:67], a[26:27], v[80:83]// 000000003E28: D3D70050 1D423542
	buffer_load_dwordx4 a[136:139], v50, s[84:87], 0 offen     // 000000003E30: E05C1000 80958832
	v_mfma_i32_16x16x32_i8 v[80:83], a[68:69], a[28:29], v[80:83]// 000000003E38: D3D70050 1D423944
	v_mfma_i32_16x16x32_i8 v[80:83], a[70:71], a[30:31], v[80:83]// 000000003E40: D3D70050 1D423D46
	v_mfma_i32_16x16x32_i8 v[84:87], a[64:65], a[32:33], v[84:87]// 000000003E48: D3D70054 1D524140
	v_mfma_i32_16x16x32_i8 v[84:87], a[66:67], a[34:35], v[84:87]// 000000003E50: D3D70054 1D524542
	buffer_load_dwordx4 a[140:143], v50, s[84:87], 0 offen offset:1024// 000000003E58: E05C1400 80958C32
	v_mfma_i32_16x16x32_i8 v[84:87], a[68:69], a[36:37], v[84:87]// 000000003E60: D3D70054 1D524944
	v_mfma_i32_16x16x32_i8 v[84:87], a[70:71], a[38:39], v[84:87]// 000000003E68: D3D70054 1D524D46
	v_mfma_i32_16x16x32_i8 v[88:91], a[64:65], a[40:41], v[88:91]// 000000003E70: D3D70058 1D625140
	v_mfma_i32_16x16x32_i8 v[88:91], a[66:67], a[42:43], v[88:91]// 000000003E78: D3D70058 1D625542
	buffer_load_dwordx4 a[144:147], v51, s[84:87], 0 offen     // 000000003E80: E05C1000 80959033
	v_mfma_i32_16x16x32_i8 v[88:91], a[68:69], a[44:45], v[88:91]// 000000003E88: D3D70058 1D625944
	v_mfma_i32_16x16x32_i8 v[88:91], a[70:71], a[46:47], v[88:91]// 000000003E90: D3D70058 1D625D46
	s_waitcnt vmcnt(17)                                        // 000000003E98: BF8C4F71
	v_mfma_i32_16x16x32_i8 v[92:95], a[72:73], a[24:25], v[92:95]// 000000003E9C: D3D7005C 1D723148
	v_mfma_i32_16x16x32_i8 v[92:95], a[74:75], a[26:27], v[92:95]// 000000003EA4: D3D7005C 1D72354A
	buffer_load_dwordx4 a[148:151], v51, s[84:87], 0 offen offset:1024// 000000003EAC: E05C1400 80959433
	v_mfma_i32_16x16x32_i8 v[92:95], a[76:77], a[28:29], v[92:95]// 000000003EB4: D3D7005C 1D72394C
	v_mfma_i32_16x16x32_i8 v[92:95], a[78:79], a[30:31], v[92:95]// 000000003EBC: D3D7005C 1D723D4E
	v_mfma_i32_16x16x32_i8 v[96:99], a[72:73], a[32:33], v[96:99]// 000000003EC4: D3D70060 1D824148
	v_mfma_i32_16x16x32_i8 v[96:99], a[74:75], a[34:35], v[96:99]// 000000003ECC: D3D70060 1D82454A
	buffer_load_dwordx4 a[152:155], v52, s[84:87], 0 offen     // 000000003ED4: E05C1000 80959834
	v_mfma_i32_16x16x32_i8 v[96:99], a[76:77], a[36:37], v[96:99]// 000000003EDC: D3D70060 1D82494C
	v_mfma_i32_16x16x32_i8 v[96:99], a[78:79], a[38:39], v[96:99]// 000000003EE4: D3D70060 1D824D4E
	v_mfma_i32_16x16x32_i8 v[100:103], a[72:73], a[40:41], v[100:103]// 000000003EEC: D3D70064 1D925148
	v_mfma_i32_16x16x32_i8 v[100:103], a[74:75], a[42:43], v[100:103]// 000000003EF4: D3D70064 1D92554A
	buffer_load_dwordx4 a[156:159], v52, s[84:87], 0 offen offset:1024// 000000003EFC: E05C1400 80959C34
	v_mfma_i32_16x16x32_i8 v[100:103], a[76:77], a[44:45], v[100:103]// 000000003F04: D3D70064 1D92594C
	v_mfma_i32_16x16x32_i8 v[100:103], a[78:79], a[46:47], v[100:103]// 000000003F0C: D3D70064 1D925D4E
	s_waitcnt vmcnt(18)                                        // 000000003F14: BF8C4F72
	v_mfma_i32_16x16x32_i8 v[104:107], a[80:81], a[24:25], v[104:107]// 000000003F18: D3D70068 1DA23150
	v_mfma_i32_16x16x32_i8 v[104:107], a[82:83], a[26:27], v[104:107]// 000000003F20: D3D70068 1DA23552
	buffer_load_dwordx4 a[160:163], v53, s[84:87], 0 offen     // 000000003F28: E05C1000 8095A035
	v_mfma_i32_16x16x32_i8 v[104:107], a[84:85], a[28:29], v[104:107]// 000000003F30: D3D70068 1DA23954
	v_mfma_i32_16x16x32_i8 v[104:107], a[86:87], a[30:31], v[104:107]// 000000003F38: D3D70068 1DA23D56
	v_mfma_i32_16x16x32_i8 v[108:111], a[80:81], a[32:33], v[108:111]// 000000003F40: D3D7006C 1DB24150
	v_mfma_i32_16x16x32_i8 v[108:111], a[82:83], a[34:35], v[108:111]// 000000003F48: D3D7006C 1DB24552
	buffer_load_dwordx4 a[164:167], v53, s[84:87], 0 offen offset:1024// 000000003F50: E05C1400 8095A435
	v_mfma_i32_16x16x32_i8 v[108:111], a[84:85], a[36:37], v[108:111]// 000000003F58: D3D7006C 1DB24954
	v_mfma_i32_16x16x32_i8 v[108:111], a[86:87], a[38:39], v[108:111]// 000000003F60: D3D7006C 1DB24D56
	v_mfma_i32_16x16x32_i8 v[112:115], a[80:81], a[40:41], v[112:115]// 000000003F68: D3D70070 1DC25150
	v_mfma_i32_16x16x32_i8 v[112:115], a[82:83], a[42:43], v[112:115]// 000000003F70: D3D70070 1DC25552
	buffer_load_dwordx4 a[168:171], v54, s[84:87], 0 offen     // 000000003F78: E05C1000 8095A836
	v_mfma_i32_16x16x32_i8 v[112:115], a[84:85], a[44:45], v[112:115]// 000000003F80: D3D70070 1DC25954
	v_mfma_i32_16x16x32_i8 v[112:115], a[86:87], a[46:47], v[112:115]// 000000003F88: D3D70070 1DC25D56
	s_waitcnt vmcnt(19)                                        // 000000003F90: BF8C4F73
	v_mfma_i32_16x16x32_i8 v[116:119], a[88:89], a[24:25], v[116:119]// 000000003F94: D3D70074 1DD23158
	v_mfma_i32_16x16x32_i8 v[116:119], a[90:91], a[26:27], v[116:119]// 000000003F9C: D3D70074 1DD2355A
	buffer_load_dwordx4 a[172:175], v54, s[84:87], 0 offen offset:1024// 000000003FA4: E05C1400 8095AC36
	buffer_load_dword v41, s[20:23], 0 offen lds               // 000000003FAC: E0511000 80050029
	s_add_u32 m0, 0x100, s49                                   // 000000003FB4: 807C31FF 00000100
	v_mfma_i32_16x16x32_i8 v[116:119], a[92:93], a[28:29], v[116:119]// 000000003FBC: D3D70074 1DD2395C
	v_mfma_i32_16x16x32_i8 v[116:119], a[94:95], a[30:31], v[116:119]// 000000003FC4: D3D70074 1DD23D5E
	buffer_load_dword v42, s[20:23], 0 offen lds               // 000000003FCC: E0511000 8005002A
	s_add_u32 m0, 0x200, s49                                   // 000000003FD4: 807C31FF 00000200
	v_mfma_i32_16x16x32_i8 v[120:123], a[88:89], a[32:33], v[120:123]// 000000003FDC: D3D70078 1DE24158
	v_mfma_i32_16x16x32_i8 v[120:123], a[90:91], a[34:35], v[120:123]// 000000003FE4: D3D70078 1DE2455A
	buffer_load_dword v43, s[20:23], 0 offen lds               // 000000003FEC: E0511000 8005002B
	s_add_u32 m0, 0x300, s49                                   // 000000003FF4: 807C31FF 00000300
	v_mfma_i32_16x16x32_i8 v[120:123], a[92:93], a[36:37], v[120:123]// 000000003FFC: D3D70078 1DE2495C
	v_mfma_i32_16x16x32_i8 v[120:123], a[94:95], a[38:39], v[120:123]// 000000004004: D3D70078 1DE24D5E
	buffer_load_dword v44, s[20:23], 0 offen lds               // 00000000400C: E0511000 8005002C
	s_add_u32 m0, 0x400, s49                                   // 000000004014: 807C31FF 00000400
	v_mfma_i32_16x16x32_i8 v[124:127], a[88:89], a[40:41], v[124:127]// 00000000401C: D3D7007C 1DF25158
	v_mfma_i32_16x16x32_i8 v[124:127], a[90:91], a[42:43], v[124:127]// 000000004024: D3D7007C 1DF2555A
	buffer_load_dword v45, s[20:23], 0 offen lds               // 00000000402C: E0511000 8005002D
	s_add_u32 m0, 0x500, s49                                   // 000000004034: 807C31FF 00000500
	v_mfma_i32_16x16x32_i8 v[124:127], a[92:93], a[44:45], v[124:127]// 00000000403C: D3D7007C 1DF2595C
	v_mfma_i32_16x16x32_i8 v[124:127], a[94:95], a[46:47], v[124:127]// 000000004044: D3D7007C 1DF25D5E
	buffer_load_dword v46, s[20:23], 0 offen lds               // 00000000404C: E0511000 8005002E
	s_add_u32 m0, 0, s48                                       // 000000004054: 807C3080
	s_waitcnt vmcnt(24)                                        // 000000004058: BF8C4F78
	v_mfma_i32_16x16x32_i8 v[128:131], a[96:97], a[24:25], v[128:131]// 00000000405C: D3D70080 1E023160
	v_mfma_i32_16x16x32_i8 v[128:131], a[98:99], a[26:27], v[128:131]// 000000004064: D3D70080 1E023562
	v_mfma_i32_16x16x32_i8 v[128:131], a[100:101], a[28:29], v[128:131]// 00000000406C: D3D70080 1E023964
	v_mfma_i32_16x16x32_i8 v[128:131], a[102:103], a[30:31], v[128:131]// 000000004074: D3D70080 1E023D66
	v_mfma_i32_16x16x32_i8 v[132:135], a[96:97], a[32:33], v[132:135]// 00000000407C: D3D70084 1E124160
	v_mfma_i32_16x16x32_i8 v[132:135], a[98:99], a[34:35], v[132:135]// 000000004084: D3D70084 1E124562
	v_mfma_i32_16x16x32_i8 v[132:135], a[100:101], a[36:37], v[132:135]// 00000000408C: D3D70084 1E124964
	v_mfma_i32_16x16x32_i8 v[132:135], a[102:103], a[38:39], v[132:135]// 000000004094: D3D70084 1E124D66
	v_mfma_i32_16x16x32_i8 v[136:139], a[96:97], a[40:41], v[136:139]// 00000000409C: D3D70088 1E225160
	v_mfma_i32_16x16x32_i8 v[136:139], a[98:99], a[42:43], v[136:139]// 0000000040A4: D3D70088 1E225562
	v_mfma_i32_16x16x32_i8 v[136:139], a[100:101], a[44:45], v[136:139]// 0000000040AC: D3D70088 1E225964
	v_mfma_i32_16x16x32_i8 v[136:139], a[102:103], a[46:47], v[136:139]// 0000000040B4: D3D70088 1E225D66
	s_waitcnt vmcnt(22)                                        // 0000000040BC: BF8C4F76
	v_mfma_i32_16x16x32_i8 v[140:143], a[104:105], a[24:25], v[140:143]// 0000000040C0: D3D7008C 1E323168
	v_mfma_i32_16x16x32_i8 v[140:143], a[106:107], a[26:27], v[140:143]// 0000000040C8: D3D7008C 1E32356A
	v_mfma_i32_16x16x32_i8 v[140:143], a[108:109], a[28:29], v[140:143]// 0000000040D0: D3D7008C 1E32396C
	v_mfma_i32_16x16x32_i8 v[140:143], a[110:111], a[30:31], v[140:143]// 0000000040D8: D3D7008C 1E323D6E
	v_mfma_i32_16x16x32_i8 v[144:147], a[104:105], a[32:33], v[144:147]// 0000000040E0: D3D70090 1E424168
	v_mfma_i32_16x16x32_i8 v[144:147], a[106:107], a[34:35], v[144:147]// 0000000040E8: D3D70090 1E42456A
	v_mfma_i32_16x16x32_i8 v[144:147], a[108:109], a[36:37], v[144:147]// 0000000040F0: D3D70090 1E42496C
	v_mfma_i32_16x16x32_i8 v[144:147], a[110:111], a[38:39], v[144:147]// 0000000040F8: D3D70090 1E424D6E
	v_mfma_i32_16x16x32_i8 v[148:151], a[104:105], a[40:41], v[148:151]// 000000004100: D3D70094 1E525168
	v_mfma_i32_16x16x32_i8 v[148:151], a[106:107], a[42:43], v[148:151]// 000000004108: D3D70094 1E52556A
	s_add_u32 s60, 0x80, s80                                   // 000000004110: 803C50FF 00000080
	s_cmp_lt_u32 s60, s81                                      // 000000004118: BF0A513C
	s_cselect_b32 s83, s83, 0                                  // 00000000411C: 85538053
	v_mfma_i32_16x16x32_i8 v[148:151], a[108:109], a[44:45], v[148:151]// 000000004120: D3D70094 1E52596C
	v_mfma_i32_16x16x32_i8 v[148:151], a[110:111], a[46:47], v[148:151]// 000000004128: D3D70094 1E525D6E
	s_waitcnt vmcnt(6)                                         // 000000004130: BF8C0F76
	v_mfma_i32_16x16x32_i8 v[152:155], a[112:113], a[24:25], v[152:155]// 000000004134: D3D70098 1E623170
	v_mfma_i32_16x16x32_i8 v[152:155], a[114:115], a[26:27], v[152:155]// 00000000413C: D3D70098 1E623572
	buffer_load_dwordx4 a[48:51], v47, s[24:27], 0 offen       // 000000004144: E05C1000 8086302F
	v_mfma_i32_16x16x32_i8 v[152:155], a[116:117], a[28:29], v[152:155]// 00000000414C: D3D70098 1E623974
	v_mfma_i32_16x16x32_i8 v[152:155], a[118:119], a[30:31], v[152:155]// 000000004154: D3D70098 1E623D76
	ds_read_b128 a[0:3], v2                                    // 00000000415C: DBFE0000 00000002
	ds_read_b128 a[4:7], v2 offset:64                          // 000000004164: DBFE0040 04000002
	v_mfma_i32_16x16x32_i8 v[164:167], a[120:121], a[24:25], v[164:167]// 00000000416C: D3D700A4 1E923178
	v_mfma_i32_16x16x32_i8 v[164:167], a[122:123], a[26:27], v[164:167]// 000000004174: D3D700A4 1E92357A
	buffer_load_dwordx4 a[52:55], v47, s[24:27], 0 offen offset:1024// 00000000417C: E05C1400 8086342F
	v_mfma_i32_16x16x32_i8 v[164:167], a[124:125], a[28:29], v[164:167]// 000000004184: D3D700A4 1E92397C
	v_mfma_i32_16x16x32_i8 v[164:167], a[126:127], a[30:31], v[164:167]// 00000000418C: D3D700A4 1E923D7E
	ds_read_b128 a[8:11], v2 offset:512                        // 000000004194: DBFE0200 08000002
	ds_read_b128 a[12:15], v2 offset:576                       // 00000000419C: DBFE0240 0C000002
	v_mfma_i32_16x16x32_i8 v[176:179], a[128:129], a[24:25], v[176:179]// 0000000041A4: D3D700B0 1EC23180
	v_mfma_i32_16x16x32_i8 v[176:179], a[130:131], a[26:27], v[176:179]// 0000000041AC: D3D700B0 1EC23582
	buffer_load_dwordx4 a[56:59], v48, s[24:27], 0 offen       // 0000000041B4: E05C1000 80863830
	v_mfma_i32_16x16x32_i8 v[176:179], a[132:133], a[28:29], v[176:179]// 0000000041BC: D3D700B0 1EC23984
	v_mfma_i32_16x16x32_i8 v[176:179], a[134:135], a[30:31], v[176:179]// 0000000041C4: D3D700B0 1EC23D86
	ds_read_b128 a[16:19], v2 offset:1024                      // 0000000041CC: DBFE0400 10000002
	ds_read_b128 a[20:23], v2 offset:1088                      // 0000000041D4: DBFE0440 14000002
	v_mfma_i32_16x16x32_i8 v[188:191], a[136:137], a[24:25], v[188:191]// 0000000041DC: D3D700BC 1EF23188
	v_mfma_i32_16x16x32_i8 v[188:191], a[138:139], a[26:27], v[188:191]// 0000000041E4: D3D700BC 1EF2358A
	buffer_load_dwordx4 a[60:63], v48, s[24:27], 0 offen offset:1024// 0000000041EC: E05C1400 80863C30
	v_mfma_i32_16x16x32_i8 v[188:191], a[140:141], a[28:29], v[188:191]// 0000000041F4: D3D700BC 1EF2398C
	v_mfma_i32_16x16x32_i8 v[188:191], a[142:143], a[30:31], v[188:191]// 0000000041FC: D3D700BC 1EF23D8E
	v_mfma_i32_16x16x32_i8 v[200:203], a[144:145], a[24:25], v[200:203]// 000000004204: D3D700C8 1F223190
	v_mfma_i32_16x16x32_i8 v[200:203], a[146:147], a[26:27], v[200:203]// 00000000420C: D3D700C8 1F223592
	buffer_load_dwordx4 a[64:67], v49, s[24:27], 0 offen       // 000000004214: E05C1000 80864031
	v_mfma_i32_16x16x32_i8 v[200:203], a[148:149], a[28:29], v[200:203]// 00000000421C: D3D700C8 1F223994
	v_mfma_i32_16x16x32_i8 v[200:203], a[150:151], a[30:31], v[200:203]// 000000004224: D3D700C8 1F223D96
	v_mfma_i32_16x16x32_i8 v[212:215], a[152:153], a[24:25], v[212:215]// 00000000422C: D3D700D4 1F523198
	v_mfma_i32_16x16x32_i8 v[212:215], a[154:155], a[26:27], v[212:215]// 000000004234: D3D700D4 1F52359A
	buffer_load_dwordx4 a[68:71], v49, s[24:27], 0 offen offset:1024// 00000000423C: E05C1400 80864431
	v_mfma_i32_16x16x32_i8 v[212:215], a[156:157], a[28:29], v[212:215]// 000000004244: D3D700D4 1F52399C
	v_mfma_i32_16x16x32_i8 v[212:215], a[158:159], a[30:31], v[212:215]// 00000000424C: D3D700D4 1F523D9E
	v_mfma_i32_16x16x32_i8 v[224:227], a[160:161], a[24:25], v[224:227]// 000000004254: D3D700E0 1F8231A0
	v_mfma_i32_16x16x32_i8 v[224:227], a[162:163], a[26:27], v[224:227]// 00000000425C: D3D700E0 1F8235A2
	buffer_load_dwordx4 a[72:75], v50, s[24:27], 0 offen       // 000000004264: E05C1000 80864832
	v_mfma_i32_16x16x32_i8 v[224:227], a[164:165], a[28:29], v[224:227]// 00000000426C: D3D700E0 1F8239A4
	v_mfma_i32_16x16x32_i8 v[224:227], a[166:167], a[30:31], v[224:227]// 000000004274: D3D700E0 1F823DA6
	v_mfma_i32_16x16x32_i8 v[236:239], a[168:169], a[24:25], v[236:239]// 00000000427C: D3D700EC 1FB231A8
	v_mfma_i32_16x16x32_i8 v[236:239], a[170:171], a[26:27], v[236:239]// 000000004284: D3D700EC 1FB235AA
	buffer_load_dwordx4 a[76:79], v50, s[24:27], 0 offen offset:1024// 00000000428C: E05C1400 80864C32
	v_mfma_i32_16x16x32_i8 v[236:239], a[172:173], a[28:29], v[236:239]// 000000004294: D3D700EC 1FB239AC
	v_mfma_i32_16x16x32_i8 v[236:239], a[174:175], a[30:31], v[236:239]// 00000000429C: D3D700EC 1FB23DAE
	v_mfma_i32_16x16x32_i8 v[156:159], a[112:113], a[32:33], v[156:159]// 0000000042A4: D3D7009C 1E724170
	v_mfma_i32_16x16x32_i8 v[156:159], a[114:115], a[34:35], v[156:159]// 0000000042AC: D3D7009C 1E724572
	buffer_load_dwordx4 a[80:83], v51, s[24:27], 0 offen       // 0000000042B4: E05C1000 80865033
	v_mfma_i32_16x16x32_i8 v[156:159], a[116:117], a[36:37], v[156:159]// 0000000042BC: D3D7009C 1E724974
	v_mfma_i32_16x16x32_i8 v[156:159], a[118:119], a[38:39], v[156:159]// 0000000042C4: D3D7009C 1E724D76
	v_mfma_i32_16x16x32_i8 v[168:171], a[120:121], a[32:33], v[168:171]// 0000000042CC: D3D700A8 1EA24178
	v_mfma_i32_16x16x32_i8 v[168:171], a[122:123], a[34:35], v[168:171]// 0000000042D4: D3D700A8 1EA2457A
	buffer_load_dwordx4 a[84:87], v51, s[24:27], 0 offen offset:1024// 0000000042DC: E05C1400 80865433
	v_mfma_i32_16x16x32_i8 v[168:171], a[124:125], a[36:37], v[168:171]// 0000000042E4: D3D700A8 1EA2497C
	v_mfma_i32_16x16x32_i8 v[168:171], a[126:127], a[38:39], v[168:171]// 0000000042EC: D3D700A8 1EA24D7E
	v_mfma_i32_16x16x32_i8 v[180:183], a[128:129], a[32:33], v[180:183]// 0000000042F4: D3D700B4 1ED24180
	v_mfma_i32_16x16x32_i8 v[180:183], a[130:131], a[34:35], v[180:183]// 0000000042FC: D3D700B4 1ED24582
	buffer_load_dwordx4 a[88:91], v52, s[24:27], 0 offen       // 000000004304: E05C1000 80865834
	v_mfma_i32_16x16x32_i8 v[180:183], a[132:133], a[36:37], v[180:183]// 00000000430C: D3D700B4 1ED24984
	v_mfma_i32_16x16x32_i8 v[180:183], a[134:135], a[38:39], v[180:183]// 000000004314: D3D700B4 1ED24D86
	v_mfma_i32_16x16x32_i8 v[192:195], a[136:137], a[32:33], v[192:195]// 00000000431C: D3D700C0 1F024188
	v_mfma_i32_16x16x32_i8 v[192:195], a[138:139], a[34:35], v[192:195]// 000000004324: D3D700C0 1F02458A
	buffer_load_dwordx4 a[92:95], v52, s[24:27], 0 offen offset:1024// 00000000432C: E05C1400 80865C34
	v_mfma_i32_16x16x32_i8 v[192:195], a[140:141], a[36:37], v[192:195]// 000000004334: D3D700C0 1F02498C
	v_mfma_i32_16x16x32_i8 v[192:195], a[142:143], a[38:39], v[192:195]// 00000000433C: D3D700C0 1F024D8E
	v_mfma_i32_16x16x32_i8 v[204:207], a[144:145], a[32:33], v[204:207]// 000000004344: D3D700CC 1F324190
	v_mfma_i32_16x16x32_i8 v[204:207], a[146:147], a[34:35], v[204:207]// 00000000434C: D3D700CC 1F324592
	buffer_load_dwordx4 a[96:99], v53, s[24:27], 0 offen       // 000000004354: E05C1000 80866035
	v_mfma_i32_16x16x32_i8 v[204:207], a[148:149], a[36:37], v[204:207]// 00000000435C: D3D700CC 1F324994
	v_mfma_i32_16x16x32_i8 v[204:207], a[150:151], a[38:39], v[204:207]// 000000004364: D3D700CC 1F324D96
	v_mfma_i32_16x16x32_i8 v[216:219], a[152:153], a[32:33], v[216:219]// 00000000436C: D3D700D8 1F624198
	v_mfma_i32_16x16x32_i8 v[216:219], a[154:155], a[34:35], v[216:219]// 000000004374: D3D700D8 1F62459A
	buffer_load_dwordx4 a[100:103], v53, s[24:27], 0 offen offset:1024// 00000000437C: E05C1400 80866435
	v_mfma_i32_16x16x32_i8 v[216:219], a[156:157], a[36:37], v[216:219]// 000000004384: D3D700D8 1F62499C
	v_mfma_i32_16x16x32_i8 v[216:219], a[158:159], a[38:39], v[216:219]// 00000000438C: D3D700D8 1F624D9E
	v_mfma_i32_16x16x32_i8 v[228:231], a[160:161], a[32:33], v[228:231]// 000000004394: D3D700E4 1F9241A0
	v_mfma_i32_16x16x32_i8 v[228:231], a[162:163], a[34:35], v[228:231]// 00000000439C: D3D700E4 1F9245A2
	buffer_load_dwordx4 a[104:107], v54, s[24:27], 0 offen     // 0000000043A4: E05C1000 80866836
	v_mfma_i32_16x16x32_i8 v[228:231], a[164:165], a[36:37], v[228:231]// 0000000043AC: D3D700E4 1F9249A4
	v_mfma_i32_16x16x32_i8 v[228:231], a[166:167], a[38:39], v[228:231]// 0000000043B4: D3D700E4 1F924DA6
	v_mfma_i32_16x16x32_i8 v[240:243], a[168:169], a[32:33], v[240:243]// 0000000043BC: D3D700F0 1FC241A8
	v_mfma_i32_16x16x32_i8 v[240:243], a[170:171], a[34:35], v[240:243]// 0000000043C4: D3D700F0 1FC245AA
	buffer_load_dwordx4 a[108:111], v54, s[24:27], 0 offen offset:1024// 0000000043CC: E05C1400 80866C36
	v_mfma_i32_16x16x32_i8 v[240:243], a[172:173], a[36:37], v[240:243]// 0000000043D4: D3D700F0 1FC249AC
	v_mfma_i32_16x16x32_i8 v[240:243], a[174:175], a[38:39], v[240:243]// 0000000043DC: D3D700F0 1FC24DAE
	v_mfma_i32_16x16x32_i8 v[160:163], a[112:113], a[40:41], v[160:163]// 0000000043E4: D3D700A0 1E825170
	v_mfma_i32_16x16x32_i8 v[160:163], a[114:115], a[42:43], v[160:163]// 0000000043EC: D3D700A0 1E825572
	v_mfma_i32_16x16x32_i8 v[160:163], a[116:117], a[44:45], v[160:163]// 0000000043F4: D3D700A0 1E825974
	v_mfma_i32_16x16x32_i8 v[160:163], a[118:119], a[46:47], v[160:163]// 0000000043FC: D3D700A0 1E825D76
	v_mfma_i32_16x16x32_i8 v[172:175], a[120:121], a[40:41], v[172:175]// 000000004404: D3D700AC 1EB25178
	v_mfma_i32_16x16x32_i8 v[172:175], a[122:123], a[42:43], v[172:175]// 00000000440C: D3D700AC 1EB2557A
	v_mfma_i32_16x16x32_i8 v[172:175], a[124:125], a[44:45], v[172:175]// 000000004414: D3D700AC 1EB2597C
	v_mfma_i32_16x16x32_i8 v[172:175], a[126:127], a[46:47], v[172:175]// 00000000441C: D3D700AC 1EB25D7E
	v_mfma_i32_16x16x32_i8 v[184:187], a[128:129], a[40:41], v[184:187]// 000000004424: D3D700B8 1EE25180
	v_mfma_i32_16x16x32_i8 v[184:187], a[130:131], a[42:43], v[184:187]// 00000000442C: D3D700B8 1EE25582
	v_mfma_i32_16x16x32_i8 v[184:187], a[132:133], a[44:45], v[184:187]// 000000004434: D3D700B8 1EE25984
	v_mfma_i32_16x16x32_i8 v[184:187], a[134:135], a[46:47], v[184:187]// 00000000443C: D3D700B8 1EE25D86
	v_mfma_i32_16x16x32_i8 v[196:199], a[136:137], a[40:41], v[196:199]// 000000004444: D3D700C4 1F125188
	v_mfma_i32_16x16x32_i8 v[196:199], a[138:139], a[42:43], v[196:199]// 00000000444C: D3D700C4 1F12558A
	v_mfma_i32_16x16x32_i8 v[196:199], a[140:141], a[44:45], v[196:199]// 000000004454: D3D700C4 1F12598C
	v_mfma_i32_16x16x32_i8 v[196:199], a[142:143], a[46:47], v[196:199]// 00000000445C: D3D700C4 1F125D8E
	v_mfma_i32_16x16x32_i8 v[208:211], a[144:145], a[40:41], v[208:211]// 000000004464: D3D700D0 1F425190
	v_mfma_i32_16x16x32_i8 v[208:211], a[146:147], a[42:43], v[208:211]// 00000000446C: D3D700D0 1F425592
	v_mfma_i32_16x16x32_i8 v[208:211], a[148:149], a[44:45], v[208:211]// 000000004474: D3D700D0 1F425994
	v_mfma_i32_16x16x32_i8 v[208:211], a[150:151], a[46:47], v[208:211]// 00000000447C: D3D700D0 1F425D96
	v_mfma_i32_16x16x32_i8 v[220:223], a[152:153], a[40:41], v[220:223]// 000000004484: D3D700DC 1F725198
	v_mfma_i32_16x16x32_i8 v[220:223], a[154:155], a[42:43], v[220:223]// 00000000448C: D3D700DC 1F72559A
	v_mfma_i32_16x16x32_i8 v[220:223], a[156:157], a[44:45], v[220:223]// 000000004494: D3D700DC 1F72599C
	v_mfma_i32_16x16x32_i8 v[220:223], a[158:159], a[46:47], v[220:223]// 00000000449C: D3D700DC 1F725D9E
	v_mfma_i32_16x16x32_i8 v[232:235], a[160:161], a[40:41], v[232:235]// 0000000044A4: D3D700E8 1FA251A0
	v_mfma_i32_16x16x32_i8 v[232:235], a[162:163], a[42:43], v[232:235]// 0000000044AC: D3D700E8 1FA255A2
	v_mfma_i32_16x16x32_i8 v[232:235], a[164:165], a[44:45], v[232:235]// 0000000044B4: D3D700E8 1FA259A4
	s_add_u32 s60, 0x180, s80                                  // 0000000044BC: 803C50FF 00000180
	s_cmp_lt_u32 s60, s81                                      // 0000000044C4: BF0A513C
	s_cselect_b32 s57, s57, 0                                  // 0000000044C8: 85398039
	v_mfma_i32_16x16x32_i8 v[232:235], a[166:167], a[46:47], v[232:235]// 0000000044CC: D3D700E8 1FA25DA6
	s_add_u32 s60, 0x100, s80                                  // 0000000044D4: 803C50FF 00000100
	s_cmp_lt_u32 s60, s81                                      // 0000000044DC: BF0A513C
	s_cselect_b32 s58, s58, 0                                  // 0000000044E0: 853A803A
	v_mfma_i32_16x16x32_i8 v[244:247], a[168:169], a[40:41], v[244:247]// 0000000044E4: D3D700F4 1FD251A8
	s_add_u32 s24, s58, s24                                    // 0000000044EC: 8018183A
	s_addc_u32 s25, 0, s25                                     // 0000000044F0: 82191980
	v_mfma_i32_16x16x32_i8 v[244:247], a[170:171], a[42:43], v[244:247]// 0000000044F4: D3D700F4 1FD255AA
	s_add_u32 s20, s57, s20                                    // 0000000044FC: 80141439
	s_addc_u32 s21, 0, s21                                     // 000000004500: 82151580
	v_mfma_i32_16x16x32_i8 v[244:247], a[172:173], a[44:45], v[244:247]// 000000004504: D3D700F4 1FD259AC
	s_add_u32 s84, s83, s84                                    // 00000000450C: 80545453
	s_addc_u32 s85, 0, s85                                     // 000000004510: 82555580
	v_mfma_i32_16x16x32_i8 v[244:247], a[174:175], a[46:47], v[244:247]// 000000004514: D3D700F4 1FD25DAE
	s_addk_i32 s80, 0x80                                       // 00000000451C: B7500080
	s_cmp_lt_i32 s80, s81                                      // 000000004520: BF045150
	s_cbranch_scc0 label_06CB                                  // 000000004524: BF840001
	s_branch label_02C6                                        // 000000004528: BF82FBFB

000000000000452c <label_06CB>:
	v_cvt_f32_i32_e32 v56, v56                                 // 00000000452C: 7E700B38
	v_cvt_f32_i32_e32 v57, v57                                 // 000000004530: 7E720B39
	v_cvt_f32_i32_e32 v58, v58                                 // 000000004534: 7E740B3A
	v_cvt_f32_i32_e32 v59, v59                                 // 000000004538: 7E760B3B
	v_mul_f32_dpp v56, v25, v56 row_newbcast:0 row_mask:0xf bank_mask:0xf// 00000000453C: 0A7070FA FF015019
	v_mul_f32_dpp v57, v25, v57 row_newbcast:1 row_mask:0xf bank_mask:0xf// 000000004544: 0A7272FA FF015119
	v_mul_f32_dpp v58, v25, v58 row_newbcast:2 row_mask:0xf bank_mask:0xf// 00000000454C: 0A7474FA FF015219
	v_mul_f32_dpp v59, v25, v59 row_newbcast:3 row_mask:0xf bank_mask:0xf// 000000004554: 0A7676FA FF015319
	v_cvt_f32_i32_e32 v60, v60                                 // 00000000455C: 7E780B3C
	v_cvt_f32_i32_e32 v61, v61                                 // 000000004560: 7E7A0B3D
	v_cvt_f32_i32_e32 v62, v62                                 // 000000004564: 7E7C0B3E
	v_cvt_f32_i32_e32 v63, v63                                 // 000000004568: 7E7E0B3F
	v_mul_f32_dpp v60, v25, v60 row_newbcast:0 row_mask:0xf bank_mask:0xf// 00000000456C: 0A7878FA FF015019
	v_mul_f32_dpp v61, v25, v61 row_newbcast:1 row_mask:0xf bank_mask:0xf// 000000004574: 0A7A7AFA FF015119
	v_mul_f32_dpp v62, v25, v62 row_newbcast:2 row_mask:0xf bank_mask:0xf// 00000000457C: 0A7C7CFA FF015219
	v_mul_f32_dpp v63, v25, v63 row_newbcast:3 row_mask:0xf bank_mask:0xf// 000000004584: 0A7E7EFA FF015319
	v_cvt_f32_i32_e32 v64, v64                                 // 00000000458C: 7E800B40
	v_cvt_f32_i32_e32 v65, v65                                 // 000000004590: 7E820B41
	v_cvt_f32_i32_e32 v66, v66                                 // 000000004594: 7E840B42
	v_cvt_f32_i32_e32 v67, v67                                 // 000000004598: 7E860B43
	v_mul_f32_dpp v64, v25, v64 row_newbcast:0 row_mask:0xf bank_mask:0xf// 00000000459C: 0A8080FA FF015019
	v_mul_f32_dpp v65, v25, v65 row_newbcast:1 row_mask:0xf bank_mask:0xf// 0000000045A4: 0A8282FA FF015119
	v_mul_f32_dpp v66, v25, v66 row_newbcast:2 row_mask:0xf bank_mask:0xf// 0000000045AC: 0A8484FA FF015219
	v_mul_f32_dpp v67, v25, v67 row_newbcast:3 row_mask:0xf bank_mask:0xf// 0000000045B4: 0A8686FA FF015319
	v_cvt_f32_i32_e32 v68, v68                                 // 0000000045BC: 7E880B44
	v_cvt_f32_i32_e32 v69, v69                                 // 0000000045C0: 7E8A0B45
	v_cvt_f32_i32_e32 v70, v70                                 // 0000000045C4: 7E8C0B46
	v_cvt_f32_i32_e32 v71, v71                                 // 0000000045C8: 7E8E0B47
	v_mul_f32_dpp v68, v25, v68 row_newbcast:4 row_mask:0xf bank_mask:0xf// 0000000045CC: 0A8888FA FF015419
	v_mul_f32_dpp v69, v25, v69 row_newbcast:5 row_mask:0xf bank_mask:0xf// 0000000045D4: 0A8A8AFA FF015519
	v_mul_f32_dpp v70, v25, v70 row_newbcast:6 row_mask:0xf bank_mask:0xf// 0000000045DC: 0A8C8CFA FF015619
	v_mul_f32_dpp v71, v25, v71 row_newbcast:7 row_mask:0xf bank_mask:0xf// 0000000045E4: 0A8E8EFA FF015719
	v_cvt_f32_i32_e32 v72, v72                                 // 0000000045EC: 7E900B48
	v_cvt_f32_i32_e32 v73, v73                                 // 0000000045F0: 7E920B49
	v_cvt_f32_i32_e32 v74, v74                                 // 0000000045F4: 7E940B4A
	v_cvt_f32_i32_e32 v75, v75                                 // 0000000045F8: 7E960B4B
	v_mul_f32_dpp v72, v25, v72 row_newbcast:4 row_mask:0xf bank_mask:0xf// 0000000045FC: 0A9090FA FF015419
	v_mul_f32_dpp v73, v25, v73 row_newbcast:5 row_mask:0xf bank_mask:0xf// 000000004604: 0A9292FA FF015519
	v_mul_f32_dpp v74, v25, v74 row_newbcast:6 row_mask:0xf bank_mask:0xf// 00000000460C: 0A9494FA FF015619
	v_mul_f32_dpp v75, v25, v75 row_newbcast:7 row_mask:0xf bank_mask:0xf// 000000004614: 0A9696FA FF015719
	v_cvt_f32_i32_e32 v76, v76                                 // 00000000461C: 7E980B4C
	v_cvt_f32_i32_e32 v77, v77                                 // 000000004620: 7E9A0B4D
	v_cvt_f32_i32_e32 v78, v78                                 // 000000004624: 7E9C0B4E
	v_cvt_f32_i32_e32 v79, v79                                 // 000000004628: 7E9E0B4F
	v_mul_f32_dpp v76, v25, v76 row_newbcast:4 row_mask:0xf bank_mask:0xf// 00000000462C: 0A9898FA FF015419
	v_mul_f32_dpp v77, v25, v77 row_newbcast:5 row_mask:0xf bank_mask:0xf// 000000004634: 0A9A9AFA FF015519
	v_mul_f32_dpp v78, v25, v78 row_newbcast:6 row_mask:0xf bank_mask:0xf// 00000000463C: 0A9C9CFA FF015619
	v_mul_f32_dpp v79, v25, v79 row_newbcast:7 row_mask:0xf bank_mask:0xf// 000000004644: 0A9E9EFA FF015719
	v_cvt_f32_i32_e32 v80, v80                                 // 00000000464C: 7EA00B50
	v_cvt_f32_i32_e32 v81, v81                                 // 000000004650: 7EA20B51
	v_cvt_f32_i32_e32 v82, v82                                 // 000000004654: 7EA40B52
	v_cvt_f32_i32_e32 v83, v83                                 // 000000004658: 7EA60B53
	v_mul_f32_dpp v80, v25, v80 row_newbcast:8 row_mask:0xf bank_mask:0xf// 00000000465C: 0AA0A0FA FF015819
	v_mul_f32_dpp v81, v25, v81 row_newbcast:9 row_mask:0xf bank_mask:0xf// 000000004664: 0AA2A2FA FF015919
	v_mul_f32_dpp v82, v25, v82 row_newbcast:10 row_mask:0xf bank_mask:0xf// 00000000466C: 0AA4A4FA FF015A19
	v_mul_f32_dpp v83, v25, v83 row_newbcast:11 row_mask:0xf bank_mask:0xf// 000000004674: 0AA6A6FA FF015B19
	v_cvt_f32_i32_e32 v84, v84                                 // 00000000467C: 7EA80B54
	v_cvt_f32_i32_e32 v85, v85                                 // 000000004680: 7EAA0B55
	v_cvt_f32_i32_e32 v86, v86                                 // 000000004684: 7EAC0B56
	v_cvt_f32_i32_e32 v87, v87                                 // 000000004688: 7EAE0B57
	v_mul_f32_dpp v84, v25, v84 row_newbcast:8 row_mask:0xf bank_mask:0xf// 00000000468C: 0AA8A8FA FF015819
	v_mul_f32_dpp v85, v25, v85 row_newbcast:9 row_mask:0xf bank_mask:0xf// 000000004694: 0AAAAAFA FF015919
	v_mul_f32_dpp v86, v25, v86 row_newbcast:10 row_mask:0xf bank_mask:0xf// 00000000469C: 0AACACFA FF015A19
	v_mul_f32_dpp v87, v25, v87 row_newbcast:11 row_mask:0xf bank_mask:0xf// 0000000046A4: 0AAEAEFA FF015B19
	v_cvt_f32_i32_e32 v88, v88                                 // 0000000046AC: 7EB00B58
	v_cvt_f32_i32_e32 v89, v89                                 // 0000000046B0: 7EB20B59
	v_cvt_f32_i32_e32 v90, v90                                 // 0000000046B4: 7EB40B5A
	v_cvt_f32_i32_e32 v91, v91                                 // 0000000046B8: 7EB60B5B
	v_mul_f32_dpp v88, v25, v88 row_newbcast:8 row_mask:0xf bank_mask:0xf// 0000000046BC: 0AB0B0FA FF015819
	v_mul_f32_dpp v89, v25, v89 row_newbcast:9 row_mask:0xf bank_mask:0xf// 0000000046C4: 0AB2B2FA FF015919
	v_mul_f32_dpp v90, v25, v90 row_newbcast:10 row_mask:0xf bank_mask:0xf// 0000000046CC: 0AB4B4FA FF015A19
	v_mul_f32_dpp v91, v25, v91 row_newbcast:11 row_mask:0xf bank_mask:0xf// 0000000046D4: 0AB6B6FA FF015B19
	v_cvt_f32_i32_e32 v92, v92                                 // 0000000046DC: 7EB80B5C
	v_cvt_f32_i32_e32 v93, v93                                 // 0000000046E0: 7EBA0B5D
	v_cvt_f32_i32_e32 v94, v94                                 // 0000000046E4: 7EBC0B5E
	v_cvt_f32_i32_e32 v95, v95                                 // 0000000046E8: 7EBE0B5F
	v_mul_f32_dpp v92, v25, v92 row_newbcast:12 row_mask:0xf bank_mask:0xf// 0000000046EC: 0AB8B8FA FF015C19
	v_mul_f32_dpp v93, v25, v93 row_newbcast:13 row_mask:0xf bank_mask:0xf// 0000000046F4: 0ABABAFA FF015D19
	v_mul_f32_dpp v94, v25, v94 row_newbcast:14 row_mask:0xf bank_mask:0xf// 0000000046FC: 0ABCBCFA FF015E19
	v_mul_f32_dpp v95, v25, v95 row_newbcast:15 row_mask:0xf bank_mask:0xf// 000000004704: 0ABEBEFA FF015F19
	v_cvt_f32_i32_e32 v96, v96                                 // 00000000470C: 7EC00B60
	v_cvt_f32_i32_e32 v97, v97                                 // 000000004710: 7EC20B61
	v_cvt_f32_i32_e32 v98, v98                                 // 000000004714: 7EC40B62
	v_cvt_f32_i32_e32 v99, v99                                 // 000000004718: 7EC60B63
	v_mul_f32_dpp v96, v25, v96 row_newbcast:12 row_mask:0xf bank_mask:0xf// 00000000471C: 0AC0C0FA FF015C19
	v_mul_f32_dpp v97, v25, v97 row_newbcast:13 row_mask:0xf bank_mask:0xf// 000000004724: 0AC2C2FA FF015D19
	v_mul_f32_dpp v98, v25, v98 row_newbcast:14 row_mask:0xf bank_mask:0xf// 00000000472C: 0AC4C4FA FF015E19
	v_mul_f32_dpp v99, v25, v99 row_newbcast:15 row_mask:0xf bank_mask:0xf// 000000004734: 0AC6C6FA FF015F19
	v_cvt_f32_i32_e32 v100, v100                               // 00000000473C: 7EC80B64
	v_cvt_f32_i32_e32 v101, v101                               // 000000004740: 7ECA0B65
	v_cvt_f32_i32_e32 v102, v102                               // 000000004744: 7ECC0B66
	v_cvt_f32_i32_e32 v103, v103                               // 000000004748: 7ECE0B67
	v_mul_f32_dpp v100, v25, v100 row_newbcast:12 row_mask:0xf bank_mask:0xf// 00000000474C: 0AC8C8FA FF015C19
	v_mul_f32_dpp v101, v25, v101 row_newbcast:13 row_mask:0xf bank_mask:0xf// 000000004754: 0ACACAFA FF015D19
	v_mul_f32_dpp v102, v25, v102 row_newbcast:14 row_mask:0xf bank_mask:0xf// 00000000475C: 0ACCCCFA FF015E19
	v_mul_f32_dpp v103, v25, v103 row_newbcast:15 row_mask:0xf bank_mask:0xf// 000000004764: 0ACECEFA FF015F19
	v_cvt_f32_i32_e32 v104, v104                               // 00000000476C: 7ED00B68
	v_cvt_f32_i32_e32 v105, v105                               // 000000004770: 7ED20B69
	v_cvt_f32_i32_e32 v106, v106                               // 000000004774: 7ED40B6A
	v_cvt_f32_i32_e32 v107, v107                               // 000000004778: 7ED60B6B
	v_mul_f32_dpp v104, v26, v104 row_newbcast:0 row_mask:0xf bank_mask:0xf// 00000000477C: 0AD0D0FA FF01501A
	v_mul_f32_dpp v105, v26, v105 row_newbcast:1 row_mask:0xf bank_mask:0xf// 000000004784: 0AD2D2FA FF01511A
	v_mul_f32_dpp v106, v26, v106 row_newbcast:2 row_mask:0xf bank_mask:0xf// 00000000478C: 0AD4D4FA FF01521A
	v_mul_f32_dpp v107, v26, v107 row_newbcast:3 row_mask:0xf bank_mask:0xf// 000000004794: 0AD6D6FA FF01531A
	v_cvt_f32_i32_e32 v108, v108                               // 00000000479C: 7ED80B6C
	v_cvt_f32_i32_e32 v109, v109                               // 0000000047A0: 7EDA0B6D
	v_cvt_f32_i32_e32 v110, v110                               // 0000000047A4: 7EDC0B6E
	v_cvt_f32_i32_e32 v111, v111                               // 0000000047A8: 7EDE0B6F
	v_mul_f32_dpp v108, v26, v108 row_newbcast:0 row_mask:0xf bank_mask:0xf// 0000000047AC: 0AD8D8FA FF01501A
	v_mul_f32_dpp v109, v26, v109 row_newbcast:1 row_mask:0xf bank_mask:0xf// 0000000047B4: 0ADADAFA FF01511A
	v_mul_f32_dpp v110, v26, v110 row_newbcast:2 row_mask:0xf bank_mask:0xf// 0000000047BC: 0ADCDCFA FF01521A
	v_mul_f32_dpp v111, v26, v111 row_newbcast:3 row_mask:0xf bank_mask:0xf// 0000000047C4: 0ADEDEFA FF01531A
	v_cvt_f32_i32_e32 v112, v112                               // 0000000047CC: 7EE00B70
	v_cvt_f32_i32_e32 v113, v113                               // 0000000047D0: 7EE20B71
	v_cvt_f32_i32_e32 v114, v114                               // 0000000047D4: 7EE40B72
	v_cvt_f32_i32_e32 v115, v115                               // 0000000047D8: 7EE60B73
	v_mul_f32_dpp v112, v26, v112 row_newbcast:0 row_mask:0xf bank_mask:0xf// 0000000047DC: 0AE0E0FA FF01501A
	v_mul_f32_dpp v113, v26, v113 row_newbcast:1 row_mask:0xf bank_mask:0xf// 0000000047E4: 0AE2E2FA FF01511A
	v_mul_f32_dpp v114, v26, v114 row_newbcast:2 row_mask:0xf bank_mask:0xf// 0000000047EC: 0AE4E4FA FF01521A
	v_mul_f32_dpp v115, v26, v115 row_newbcast:3 row_mask:0xf bank_mask:0xf// 0000000047F4: 0AE6E6FA FF01531A
	v_cvt_f32_i32_e32 v116, v116                               // 0000000047FC: 7EE80B74
	v_cvt_f32_i32_e32 v117, v117                               // 000000004800: 7EEA0B75
	v_cvt_f32_i32_e32 v118, v118                               // 000000004804: 7EEC0B76
	v_cvt_f32_i32_e32 v119, v119                               // 000000004808: 7EEE0B77
	v_mul_f32_dpp v116, v26, v116 row_newbcast:4 row_mask:0xf bank_mask:0xf// 00000000480C: 0AE8E8FA FF01541A
	v_mul_f32_dpp v117, v26, v117 row_newbcast:5 row_mask:0xf bank_mask:0xf// 000000004814: 0AEAEAFA FF01551A
	v_mul_f32_dpp v118, v26, v118 row_newbcast:6 row_mask:0xf bank_mask:0xf// 00000000481C: 0AECECFA FF01561A
	v_mul_f32_dpp v119, v26, v119 row_newbcast:7 row_mask:0xf bank_mask:0xf// 000000004824: 0AEEEEFA FF01571A
	v_cvt_f32_i32_e32 v120, v120                               // 00000000482C: 7EF00B78
	v_cvt_f32_i32_e32 v121, v121                               // 000000004830: 7EF20B79
	v_cvt_f32_i32_e32 v122, v122                               // 000000004834: 7EF40B7A
	v_cvt_f32_i32_e32 v123, v123                               // 000000004838: 7EF60B7B
	v_mul_f32_dpp v120, v26, v120 row_newbcast:4 row_mask:0xf bank_mask:0xf// 00000000483C: 0AF0F0FA FF01541A
	v_mul_f32_dpp v121, v26, v121 row_newbcast:5 row_mask:0xf bank_mask:0xf// 000000004844: 0AF2F2FA FF01551A
	v_mul_f32_dpp v122, v26, v122 row_newbcast:6 row_mask:0xf bank_mask:0xf// 00000000484C: 0AF4F4FA FF01561A
	v_mul_f32_dpp v123, v26, v123 row_newbcast:7 row_mask:0xf bank_mask:0xf// 000000004854: 0AF6F6FA FF01571A
	v_cvt_f32_i32_e32 v124, v124                               // 00000000485C: 7EF80B7C
	v_cvt_f32_i32_e32 v125, v125                               // 000000004860: 7EFA0B7D
	v_cvt_f32_i32_e32 v126, v126                               // 000000004864: 7EFC0B7E
	v_cvt_f32_i32_e32 v127, v127                               // 000000004868: 7EFE0B7F
	v_mul_f32_dpp v124, v26, v124 row_newbcast:4 row_mask:0xf bank_mask:0xf// 00000000486C: 0AF8F8FA FF01541A
	v_mul_f32_dpp v125, v26, v125 row_newbcast:5 row_mask:0xf bank_mask:0xf// 000000004874: 0AFAFAFA FF01551A
	v_mul_f32_dpp v126, v26, v126 row_newbcast:6 row_mask:0xf bank_mask:0xf// 00000000487C: 0AFCFCFA FF01561A
	v_mul_f32_dpp v127, v26, v127 row_newbcast:7 row_mask:0xf bank_mask:0xf// 000000004884: 0AFEFEFA FF01571A
	v_cvt_f32_i32_e32 v128, v128                               // 00000000488C: 7F000B80
	v_cvt_f32_i32_e32 v129, v129                               // 000000004890: 7F020B81
	v_cvt_f32_i32_e32 v130, v130                               // 000000004894: 7F040B82
	v_cvt_f32_i32_e32 v131, v131                               // 000000004898: 7F060B83
	v_mul_f32_dpp v128, v26, v128 row_newbcast:8 row_mask:0xf bank_mask:0xf// 00000000489C: 0B0100FA FF01581A
	v_mul_f32_dpp v129, v26, v129 row_newbcast:9 row_mask:0xf bank_mask:0xf// 0000000048A4: 0B0302FA FF01591A
	v_mul_f32_dpp v130, v26, v130 row_newbcast:10 row_mask:0xf bank_mask:0xf// 0000000048AC: 0B0504FA FF015A1A
	v_mul_f32_dpp v131, v26, v131 row_newbcast:11 row_mask:0xf bank_mask:0xf// 0000000048B4: 0B0706FA FF015B1A
	v_cvt_f32_i32_e32 v132, v132                               // 0000000048BC: 7F080B84
	v_cvt_f32_i32_e32 v133, v133                               // 0000000048C0: 7F0A0B85
	v_cvt_f32_i32_e32 v134, v134                               // 0000000048C4: 7F0C0B86
	v_cvt_f32_i32_e32 v135, v135                               // 0000000048C8: 7F0E0B87
	v_mul_f32_dpp v132, v26, v132 row_newbcast:8 row_mask:0xf bank_mask:0xf// 0000000048CC: 0B0908FA FF01581A
	v_mul_f32_dpp v133, v26, v133 row_newbcast:9 row_mask:0xf bank_mask:0xf// 0000000048D4: 0B0B0AFA FF01591A
	v_mul_f32_dpp v134, v26, v134 row_newbcast:10 row_mask:0xf bank_mask:0xf// 0000000048DC: 0B0D0CFA FF015A1A
	v_mul_f32_dpp v135, v26, v135 row_newbcast:11 row_mask:0xf bank_mask:0xf// 0000000048E4: 0B0F0EFA FF015B1A
	v_cvt_f32_i32_e32 v136, v136                               // 0000000048EC: 7F100B88
	v_cvt_f32_i32_e32 v137, v137                               // 0000000048F0: 7F120B89
	v_cvt_f32_i32_e32 v138, v138                               // 0000000048F4: 7F140B8A
	v_cvt_f32_i32_e32 v139, v139                               // 0000000048F8: 7F160B8B
	v_mul_f32_dpp v136, v26, v136 row_newbcast:8 row_mask:0xf bank_mask:0xf// 0000000048FC: 0B1110FA FF01581A
	v_mul_f32_dpp v137, v26, v137 row_newbcast:9 row_mask:0xf bank_mask:0xf// 000000004904: 0B1312FA FF01591A
	v_mul_f32_dpp v138, v26, v138 row_newbcast:10 row_mask:0xf bank_mask:0xf// 00000000490C: 0B1514FA FF015A1A
	v_mul_f32_dpp v139, v26, v139 row_newbcast:11 row_mask:0xf bank_mask:0xf// 000000004914: 0B1716FA FF015B1A
	v_cvt_f32_i32_e32 v140, v140                               // 00000000491C: 7F180B8C
	v_cvt_f32_i32_e32 v141, v141                               // 000000004920: 7F1A0B8D
	v_cvt_f32_i32_e32 v142, v142                               // 000000004924: 7F1C0B8E
	v_cvt_f32_i32_e32 v143, v143                               // 000000004928: 7F1E0B8F
	v_mul_f32_dpp v140, v26, v140 row_newbcast:12 row_mask:0xf bank_mask:0xf// 00000000492C: 0B1918FA FF015C1A
	v_mul_f32_dpp v141, v26, v141 row_newbcast:13 row_mask:0xf bank_mask:0xf// 000000004934: 0B1B1AFA FF015D1A
	v_mul_f32_dpp v142, v26, v142 row_newbcast:14 row_mask:0xf bank_mask:0xf// 00000000493C: 0B1D1CFA FF015E1A
	v_mul_f32_dpp v143, v26, v143 row_newbcast:15 row_mask:0xf bank_mask:0xf// 000000004944: 0B1F1EFA FF015F1A
	v_cvt_f32_i32_e32 v144, v144                               // 00000000494C: 7F200B90
	v_cvt_f32_i32_e32 v145, v145                               // 000000004950: 7F220B91
	v_cvt_f32_i32_e32 v146, v146                               // 000000004954: 7F240B92
	v_cvt_f32_i32_e32 v147, v147                               // 000000004958: 7F260B93
	v_mul_f32_dpp v144, v26, v144 row_newbcast:12 row_mask:0xf bank_mask:0xf// 00000000495C: 0B2120FA FF015C1A
	v_mul_f32_dpp v145, v26, v145 row_newbcast:13 row_mask:0xf bank_mask:0xf// 000000004964: 0B2322FA FF015D1A
	v_mul_f32_dpp v146, v26, v146 row_newbcast:14 row_mask:0xf bank_mask:0xf// 00000000496C: 0B2524FA FF015E1A
	v_mul_f32_dpp v147, v26, v147 row_newbcast:15 row_mask:0xf bank_mask:0xf// 000000004974: 0B2726FA FF015F1A
	v_cvt_f32_i32_e32 v148, v148                               // 00000000497C: 7F280B94
	v_cvt_f32_i32_e32 v149, v149                               // 000000004980: 7F2A0B95
	v_cvt_f32_i32_e32 v150, v150                               // 000000004984: 7F2C0B96
	v_cvt_f32_i32_e32 v151, v151                               // 000000004988: 7F2E0B97
	v_mul_f32_dpp v148, v26, v148 row_newbcast:12 row_mask:0xf bank_mask:0xf// 00000000498C: 0B2928FA FF015C1A
	v_mul_f32_dpp v149, v26, v149 row_newbcast:13 row_mask:0xf bank_mask:0xf// 000000004994: 0B2B2AFA FF015D1A
	v_mul_f32_dpp v150, v26, v150 row_newbcast:14 row_mask:0xf bank_mask:0xf// 00000000499C: 0B2D2CFA FF015E1A
	v_mul_f32_dpp v151, v26, v151 row_newbcast:15 row_mask:0xf bank_mask:0xf// 0000000049A4: 0B2F2EFA FF015F1A
	v_cvt_f32_i32_e32 v152, v152                               // 0000000049AC: 7F300B98
	v_cvt_f32_i32_e32 v153, v153                               // 0000000049B0: 7F320B99
	v_cvt_f32_i32_e32 v154, v154                               // 0000000049B4: 7F340B9A
	v_cvt_f32_i32_e32 v155, v155                               // 0000000049B8: 7F360B9B
	v_mul_f32_dpp v152, v27, v152 row_newbcast:0 row_mask:0xf bank_mask:0xf// 0000000049BC: 0B3130FA FF01501B
	v_mul_f32_dpp v153, v27, v153 row_newbcast:1 row_mask:0xf bank_mask:0xf// 0000000049C4: 0B3332FA FF01511B
	v_mul_f32_dpp v154, v27, v154 row_newbcast:2 row_mask:0xf bank_mask:0xf// 0000000049CC: 0B3534FA FF01521B
	v_mul_f32_dpp v155, v27, v155 row_newbcast:3 row_mask:0xf bank_mask:0xf// 0000000049D4: 0B3736FA FF01531B
	v_cvt_f32_i32_e32 v156, v156                               // 0000000049DC: 7F380B9C
	v_cvt_f32_i32_e32 v157, v157                               // 0000000049E0: 7F3A0B9D
	v_cvt_f32_i32_e32 v158, v158                               // 0000000049E4: 7F3C0B9E
	v_cvt_f32_i32_e32 v159, v159                               // 0000000049E8: 7F3E0B9F
	v_mul_f32_dpp v156, v27, v156 row_newbcast:0 row_mask:0xf bank_mask:0xf// 0000000049EC: 0B3938FA FF01501B
	v_mul_f32_dpp v157, v27, v157 row_newbcast:1 row_mask:0xf bank_mask:0xf// 0000000049F4: 0B3B3AFA FF01511B
	v_mul_f32_dpp v158, v27, v158 row_newbcast:2 row_mask:0xf bank_mask:0xf// 0000000049FC: 0B3D3CFA FF01521B
	v_mul_f32_dpp v159, v27, v159 row_newbcast:3 row_mask:0xf bank_mask:0xf// 000000004A04: 0B3F3EFA FF01531B
	v_cvt_f32_i32_e32 v160, v160                               // 000000004A0C: 7F400BA0
	v_cvt_f32_i32_e32 v161, v161                               // 000000004A10: 7F420BA1
	v_cvt_f32_i32_e32 v162, v162                               // 000000004A14: 7F440BA2
	v_cvt_f32_i32_e32 v163, v163                               // 000000004A18: 7F460BA3
	v_mul_f32_dpp v160, v27, v160 row_newbcast:0 row_mask:0xf bank_mask:0xf// 000000004A1C: 0B4140FA FF01501B
	v_mul_f32_dpp v161, v27, v161 row_newbcast:1 row_mask:0xf bank_mask:0xf// 000000004A24: 0B4342FA FF01511B
	v_mul_f32_dpp v162, v27, v162 row_newbcast:2 row_mask:0xf bank_mask:0xf// 000000004A2C: 0B4544FA FF01521B
	v_mul_f32_dpp v163, v27, v163 row_newbcast:3 row_mask:0xf bank_mask:0xf// 000000004A34: 0B4746FA FF01531B
	v_cvt_f32_i32_e32 v164, v164                               // 000000004A3C: 7F480BA4
	v_cvt_f32_i32_e32 v165, v165                               // 000000004A40: 7F4A0BA5
	v_cvt_f32_i32_e32 v166, v166                               // 000000004A44: 7F4C0BA6
	v_cvt_f32_i32_e32 v167, v167                               // 000000004A48: 7F4E0BA7
	v_mul_f32_dpp v164, v27, v164 row_newbcast:4 row_mask:0xf bank_mask:0xf// 000000004A4C: 0B4948FA FF01541B
	v_mul_f32_dpp v165, v27, v165 row_newbcast:5 row_mask:0xf bank_mask:0xf// 000000004A54: 0B4B4AFA FF01551B
	v_mul_f32_dpp v166, v27, v166 row_newbcast:6 row_mask:0xf bank_mask:0xf// 000000004A5C: 0B4D4CFA FF01561B
	v_mul_f32_dpp v167, v27, v167 row_newbcast:7 row_mask:0xf bank_mask:0xf// 000000004A64: 0B4F4EFA FF01571B
	v_cvt_f32_i32_e32 v168, v168                               // 000000004A6C: 7F500BA8
	v_cvt_f32_i32_e32 v169, v169                               // 000000004A70: 7F520BA9
	v_cvt_f32_i32_e32 v170, v170                               // 000000004A74: 7F540BAA
	v_cvt_f32_i32_e32 v171, v171                               // 000000004A78: 7F560BAB
	v_mul_f32_dpp v168, v27, v168 row_newbcast:4 row_mask:0xf bank_mask:0xf// 000000004A7C: 0B5150FA FF01541B
	v_mul_f32_dpp v169, v27, v169 row_newbcast:5 row_mask:0xf bank_mask:0xf// 000000004A84: 0B5352FA FF01551B
	v_mul_f32_dpp v170, v27, v170 row_newbcast:6 row_mask:0xf bank_mask:0xf// 000000004A8C: 0B5554FA FF01561B
	v_mul_f32_dpp v171, v27, v171 row_newbcast:7 row_mask:0xf bank_mask:0xf// 000000004A94: 0B5756FA FF01571B
	v_cvt_f32_i32_e32 v172, v172                               // 000000004A9C: 7F580BAC
	v_cvt_f32_i32_e32 v173, v173                               // 000000004AA0: 7F5A0BAD
	v_cvt_f32_i32_e32 v174, v174                               // 000000004AA4: 7F5C0BAE
	v_cvt_f32_i32_e32 v175, v175                               // 000000004AA8: 7F5E0BAF
	v_mul_f32_dpp v172, v27, v172 row_newbcast:4 row_mask:0xf bank_mask:0xf// 000000004AAC: 0B5958FA FF01541B
	v_mul_f32_dpp v173, v27, v173 row_newbcast:5 row_mask:0xf bank_mask:0xf// 000000004AB4: 0B5B5AFA FF01551B
	v_mul_f32_dpp v174, v27, v174 row_newbcast:6 row_mask:0xf bank_mask:0xf// 000000004ABC: 0B5D5CFA FF01561B
	v_mul_f32_dpp v175, v27, v175 row_newbcast:7 row_mask:0xf bank_mask:0xf// 000000004AC4: 0B5F5EFA FF01571B
	v_cvt_f32_i32_e32 v176, v176                               // 000000004ACC: 7F600BB0
	v_cvt_f32_i32_e32 v177, v177                               // 000000004AD0: 7F620BB1
	v_cvt_f32_i32_e32 v178, v178                               // 000000004AD4: 7F640BB2
	v_cvt_f32_i32_e32 v179, v179                               // 000000004AD8: 7F660BB3
	v_mul_f32_dpp v176, v27, v176 row_newbcast:8 row_mask:0xf bank_mask:0xf// 000000004ADC: 0B6160FA FF01581B
	v_mul_f32_dpp v177, v27, v177 row_newbcast:9 row_mask:0xf bank_mask:0xf// 000000004AE4: 0B6362FA FF01591B
	v_mul_f32_dpp v178, v27, v178 row_newbcast:10 row_mask:0xf bank_mask:0xf// 000000004AEC: 0B6564FA FF015A1B
	v_mul_f32_dpp v179, v27, v179 row_newbcast:11 row_mask:0xf bank_mask:0xf// 000000004AF4: 0B6766FA FF015B1B
	v_cvt_f32_i32_e32 v180, v180                               // 000000004AFC: 7F680BB4
	v_cvt_f32_i32_e32 v181, v181                               // 000000004B00: 7F6A0BB5
	v_cvt_f32_i32_e32 v182, v182                               // 000000004B04: 7F6C0BB6
	v_cvt_f32_i32_e32 v183, v183                               // 000000004B08: 7F6E0BB7
	v_mul_f32_dpp v180, v27, v180 row_newbcast:8 row_mask:0xf bank_mask:0xf// 000000004B0C: 0B6968FA FF01581B
	v_mul_f32_dpp v181, v27, v181 row_newbcast:9 row_mask:0xf bank_mask:0xf// 000000004B14: 0B6B6AFA FF01591B
	v_mul_f32_dpp v182, v27, v182 row_newbcast:10 row_mask:0xf bank_mask:0xf// 000000004B1C: 0B6D6CFA FF015A1B
	v_mul_f32_dpp v183, v27, v183 row_newbcast:11 row_mask:0xf bank_mask:0xf// 000000004B24: 0B6F6EFA FF015B1B
	v_cvt_f32_i32_e32 v184, v184                               // 000000004B2C: 7F700BB8
	v_cvt_f32_i32_e32 v185, v185                               // 000000004B30: 7F720BB9
	v_cvt_f32_i32_e32 v186, v186                               // 000000004B34: 7F740BBA
	v_cvt_f32_i32_e32 v187, v187                               // 000000004B38: 7F760BBB
	v_mul_f32_dpp v184, v27, v184 row_newbcast:8 row_mask:0xf bank_mask:0xf// 000000004B3C: 0B7170FA FF01581B
	v_mul_f32_dpp v185, v27, v185 row_newbcast:9 row_mask:0xf bank_mask:0xf// 000000004B44: 0B7372FA FF01591B
	v_mul_f32_dpp v186, v27, v186 row_newbcast:10 row_mask:0xf bank_mask:0xf// 000000004B4C: 0B7574FA FF015A1B
	v_mul_f32_dpp v187, v27, v187 row_newbcast:11 row_mask:0xf bank_mask:0xf// 000000004B54: 0B7776FA FF015B1B
	v_cvt_f32_i32_e32 v188, v188                               // 000000004B5C: 7F780BBC
	v_cvt_f32_i32_e32 v189, v189                               // 000000004B60: 7F7A0BBD
	v_cvt_f32_i32_e32 v190, v190                               // 000000004B64: 7F7C0BBE
	v_cvt_f32_i32_e32 v191, v191                               // 000000004B68: 7F7E0BBF
	v_mul_f32_dpp v188, v27, v188 row_newbcast:12 row_mask:0xf bank_mask:0xf// 000000004B6C: 0B7978FA FF015C1B
	v_mul_f32_dpp v189, v27, v189 row_newbcast:13 row_mask:0xf bank_mask:0xf// 000000004B74: 0B7B7AFA FF015D1B
	v_mul_f32_dpp v190, v27, v190 row_newbcast:14 row_mask:0xf bank_mask:0xf// 000000004B7C: 0B7D7CFA FF015E1B
	v_mul_f32_dpp v191, v27, v191 row_newbcast:15 row_mask:0xf bank_mask:0xf// 000000004B84: 0B7F7EFA FF015F1B
	v_cvt_f32_i32_e32 v192, v192                               // 000000004B8C: 7F800BC0
	v_cvt_f32_i32_e32 v193, v193                               // 000000004B90: 7F820BC1
	v_cvt_f32_i32_e32 v194, v194                               // 000000004B94: 7F840BC2
	v_cvt_f32_i32_e32 v195, v195                               // 000000004B98: 7F860BC3
	v_mul_f32_dpp v192, v27, v192 row_newbcast:12 row_mask:0xf bank_mask:0xf// 000000004B9C: 0B8180FA FF015C1B
	v_mul_f32_dpp v193, v27, v193 row_newbcast:13 row_mask:0xf bank_mask:0xf// 000000004BA4: 0B8382FA FF015D1B
	v_mul_f32_dpp v194, v27, v194 row_newbcast:14 row_mask:0xf bank_mask:0xf// 000000004BAC: 0B8584FA FF015E1B
	v_mul_f32_dpp v195, v27, v195 row_newbcast:15 row_mask:0xf bank_mask:0xf// 000000004BB4: 0B8786FA FF015F1B
	v_cvt_f32_i32_e32 v196, v196                               // 000000004BBC: 7F880BC4
	v_cvt_f32_i32_e32 v197, v197                               // 000000004BC0: 7F8A0BC5
	v_cvt_f32_i32_e32 v198, v198                               // 000000004BC4: 7F8C0BC6
	v_cvt_f32_i32_e32 v199, v199                               // 000000004BC8: 7F8E0BC7
	v_mul_f32_dpp v196, v27, v196 row_newbcast:12 row_mask:0xf bank_mask:0xf// 000000004BCC: 0B8988FA FF015C1B
	v_mul_f32_dpp v197, v27, v197 row_newbcast:13 row_mask:0xf bank_mask:0xf// 000000004BD4: 0B8B8AFA FF015D1B
	v_mul_f32_dpp v198, v27, v198 row_newbcast:14 row_mask:0xf bank_mask:0xf// 000000004BDC: 0B8D8CFA FF015E1B
	v_mul_f32_dpp v199, v27, v199 row_newbcast:15 row_mask:0xf bank_mask:0xf// 000000004BE4: 0B8F8EFA FF015F1B
	v_cvt_f32_i32_e32 v200, v200                               // 000000004BEC: 7F900BC8
	v_cvt_f32_i32_e32 v201, v201                               // 000000004BF0: 7F920BC9
	v_cvt_f32_i32_e32 v202, v202                               // 000000004BF4: 7F940BCA
	v_cvt_f32_i32_e32 v203, v203                               // 000000004BF8: 7F960BCB
	v_mul_f32_dpp v200, v28, v200 row_newbcast:0 row_mask:0xf bank_mask:0xf// 000000004BFC: 0B9190FA FF01501C
	v_mul_f32_dpp v201, v28, v201 row_newbcast:1 row_mask:0xf bank_mask:0xf// 000000004C04: 0B9392FA FF01511C
	v_mul_f32_dpp v202, v28, v202 row_newbcast:2 row_mask:0xf bank_mask:0xf// 000000004C0C: 0B9594FA FF01521C
	v_mul_f32_dpp v203, v28, v203 row_newbcast:3 row_mask:0xf bank_mask:0xf// 000000004C14: 0B9796FA FF01531C
	v_cvt_f32_i32_e32 v204, v204                               // 000000004C1C: 7F980BCC
	v_cvt_f32_i32_e32 v205, v205                               // 000000004C20: 7F9A0BCD
	v_cvt_f32_i32_e32 v206, v206                               // 000000004C24: 7F9C0BCE
	v_cvt_f32_i32_e32 v207, v207                               // 000000004C28: 7F9E0BCF
	v_mul_f32_dpp v204, v28, v204 row_newbcast:0 row_mask:0xf bank_mask:0xf// 000000004C2C: 0B9998FA FF01501C
	v_mul_f32_dpp v205, v28, v205 row_newbcast:1 row_mask:0xf bank_mask:0xf// 000000004C34: 0B9B9AFA FF01511C
	v_mul_f32_dpp v206, v28, v206 row_newbcast:2 row_mask:0xf bank_mask:0xf// 000000004C3C: 0B9D9CFA FF01521C
	v_mul_f32_dpp v207, v28, v207 row_newbcast:3 row_mask:0xf bank_mask:0xf// 000000004C44: 0B9F9EFA FF01531C
	v_cvt_f32_i32_e32 v208, v208                               // 000000004C4C: 7FA00BD0
	v_cvt_f32_i32_e32 v209, v209                               // 000000004C50: 7FA20BD1
	v_cvt_f32_i32_e32 v210, v210                               // 000000004C54: 7FA40BD2
	v_cvt_f32_i32_e32 v211, v211                               // 000000004C58: 7FA60BD3
	v_mul_f32_dpp v208, v28, v208 row_newbcast:0 row_mask:0xf bank_mask:0xf// 000000004C5C: 0BA1A0FA FF01501C
	v_mul_f32_dpp v209, v28, v209 row_newbcast:1 row_mask:0xf bank_mask:0xf// 000000004C64: 0BA3A2FA FF01511C
	v_mul_f32_dpp v210, v28, v210 row_newbcast:2 row_mask:0xf bank_mask:0xf// 000000004C6C: 0BA5A4FA FF01521C
	v_mul_f32_dpp v211, v28, v211 row_newbcast:3 row_mask:0xf bank_mask:0xf// 000000004C74: 0BA7A6FA FF01531C
	v_cvt_f32_i32_e32 v212, v212                               // 000000004C7C: 7FA80BD4
	v_cvt_f32_i32_e32 v213, v213                               // 000000004C80: 7FAA0BD5
	v_cvt_f32_i32_e32 v214, v214                               // 000000004C84: 7FAC0BD6
	v_cvt_f32_i32_e32 v215, v215                               // 000000004C88: 7FAE0BD7
	v_mul_f32_dpp v212, v28, v212 row_newbcast:4 row_mask:0xf bank_mask:0xf// 000000004C8C: 0BA9A8FA FF01541C
	v_mul_f32_dpp v213, v28, v213 row_newbcast:5 row_mask:0xf bank_mask:0xf// 000000004C94: 0BABAAFA FF01551C
	v_mul_f32_dpp v214, v28, v214 row_newbcast:6 row_mask:0xf bank_mask:0xf// 000000004C9C: 0BADACFA FF01561C
	v_mul_f32_dpp v215, v28, v215 row_newbcast:7 row_mask:0xf bank_mask:0xf// 000000004CA4: 0BAFAEFA FF01571C
	v_cvt_f32_i32_e32 v216, v216                               // 000000004CAC: 7FB00BD8
	v_cvt_f32_i32_e32 v217, v217                               // 000000004CB0: 7FB20BD9
	v_cvt_f32_i32_e32 v218, v218                               // 000000004CB4: 7FB40BDA
	v_cvt_f32_i32_e32 v219, v219                               // 000000004CB8: 7FB60BDB
	v_mul_f32_dpp v216, v28, v216 row_newbcast:4 row_mask:0xf bank_mask:0xf// 000000004CBC: 0BB1B0FA FF01541C
	v_mul_f32_dpp v217, v28, v217 row_newbcast:5 row_mask:0xf bank_mask:0xf// 000000004CC4: 0BB3B2FA FF01551C
	v_mul_f32_dpp v218, v28, v218 row_newbcast:6 row_mask:0xf bank_mask:0xf// 000000004CCC: 0BB5B4FA FF01561C
	v_mul_f32_dpp v219, v28, v219 row_newbcast:7 row_mask:0xf bank_mask:0xf// 000000004CD4: 0BB7B6FA FF01571C
	v_cvt_f32_i32_e32 v220, v220                               // 000000004CDC: 7FB80BDC
	v_cvt_f32_i32_e32 v221, v221                               // 000000004CE0: 7FBA0BDD
	v_cvt_f32_i32_e32 v222, v222                               // 000000004CE4: 7FBC0BDE
	v_cvt_f32_i32_e32 v223, v223                               // 000000004CE8: 7FBE0BDF
	v_mul_f32_dpp v220, v28, v220 row_newbcast:4 row_mask:0xf bank_mask:0xf// 000000004CEC: 0BB9B8FA FF01541C
	v_mul_f32_dpp v221, v28, v221 row_newbcast:5 row_mask:0xf bank_mask:0xf// 000000004CF4: 0BBBBAFA FF01551C
	v_mul_f32_dpp v222, v28, v222 row_newbcast:6 row_mask:0xf bank_mask:0xf// 000000004CFC: 0BBDBCFA FF01561C
	v_mul_f32_dpp v223, v28, v223 row_newbcast:7 row_mask:0xf bank_mask:0xf// 000000004D04: 0BBFBEFA FF01571C
	v_cvt_f32_i32_e32 v224, v224                               // 000000004D0C: 7FC00BE0
	v_cvt_f32_i32_e32 v225, v225                               // 000000004D10: 7FC20BE1
	v_cvt_f32_i32_e32 v226, v226                               // 000000004D14: 7FC40BE2
	v_cvt_f32_i32_e32 v227, v227                               // 000000004D18: 7FC60BE3
	v_mul_f32_dpp v224, v28, v224 row_newbcast:8 row_mask:0xf bank_mask:0xf// 000000004D1C: 0BC1C0FA FF01581C
	v_mul_f32_dpp v225, v28, v225 row_newbcast:9 row_mask:0xf bank_mask:0xf// 000000004D24: 0BC3C2FA FF01591C
	v_mul_f32_dpp v226, v28, v226 row_newbcast:10 row_mask:0xf bank_mask:0xf// 000000004D2C: 0BC5C4FA FF015A1C
	v_mul_f32_dpp v227, v28, v227 row_newbcast:11 row_mask:0xf bank_mask:0xf// 000000004D34: 0BC7C6FA FF015B1C
	v_cvt_f32_i32_e32 v228, v228                               // 000000004D3C: 7FC80BE4
	v_cvt_f32_i32_e32 v229, v229                               // 000000004D40: 7FCA0BE5
	v_cvt_f32_i32_e32 v230, v230                               // 000000004D44: 7FCC0BE6
	v_cvt_f32_i32_e32 v231, v231                               // 000000004D48: 7FCE0BE7
	v_mul_f32_dpp v228, v28, v228 row_newbcast:8 row_mask:0xf bank_mask:0xf// 000000004D4C: 0BC9C8FA FF01581C
	v_mul_f32_dpp v229, v28, v229 row_newbcast:9 row_mask:0xf bank_mask:0xf// 000000004D54: 0BCBCAFA FF01591C
	v_mul_f32_dpp v230, v28, v230 row_newbcast:10 row_mask:0xf bank_mask:0xf// 000000004D5C: 0BCDCCFA FF015A1C
	v_mul_f32_dpp v231, v28, v231 row_newbcast:11 row_mask:0xf bank_mask:0xf// 000000004D64: 0BCFCEFA FF015B1C
	v_cvt_f32_i32_e32 v232, v232                               // 000000004D6C: 7FD00BE8
	v_cvt_f32_i32_e32 v233, v233                               // 000000004D70: 7FD20BE9
	v_cvt_f32_i32_e32 v234, v234                               // 000000004D74: 7FD40BEA
	v_cvt_f32_i32_e32 v235, v235                               // 000000004D78: 7FD60BEB
	v_mul_f32_dpp v232, v28, v232 row_newbcast:8 row_mask:0xf bank_mask:0xf// 000000004D7C: 0BD1D0FA FF01581C
	v_mul_f32_dpp v233, v28, v233 row_newbcast:9 row_mask:0xf bank_mask:0xf// 000000004D84: 0BD3D2FA FF01591C
	v_mul_f32_dpp v234, v28, v234 row_newbcast:10 row_mask:0xf bank_mask:0xf// 000000004D8C: 0BD5D4FA FF015A1C
	v_mul_f32_dpp v235, v28, v235 row_newbcast:11 row_mask:0xf bank_mask:0xf// 000000004D94: 0BD7D6FA FF015B1C
	v_cvt_f32_i32_e32 v236, v236                               // 000000004D9C: 7FD80BEC
	v_cvt_f32_i32_e32 v237, v237                               // 000000004DA0: 7FDA0BED
	v_cvt_f32_i32_e32 v238, v238                               // 000000004DA4: 7FDC0BEE
	v_cvt_f32_i32_e32 v239, v239                               // 000000004DA8: 7FDE0BEF
	v_mul_f32_dpp v236, v28, v236 row_newbcast:12 row_mask:0xf bank_mask:0xf// 000000004DAC: 0BD9D8FA FF015C1C
	v_mul_f32_dpp v237, v28, v237 row_newbcast:13 row_mask:0xf bank_mask:0xf// 000000004DB4: 0BDBDAFA FF015D1C
	v_mul_f32_dpp v238, v28, v238 row_newbcast:14 row_mask:0xf bank_mask:0xf// 000000004DBC: 0BDDDCFA FF015E1C
	v_mul_f32_dpp v239, v28, v239 row_newbcast:15 row_mask:0xf bank_mask:0xf// 000000004DC4: 0BDFDEFA FF015F1C
	v_cvt_f32_i32_e32 v240, v240                               // 000000004DCC: 7FE00BF0
	v_cvt_f32_i32_e32 v241, v241                               // 000000004DD0: 7FE20BF1
	v_cvt_f32_i32_e32 v242, v242                               // 000000004DD4: 7FE40BF2
	v_cvt_f32_i32_e32 v243, v243                               // 000000004DD8: 7FE60BF3
	v_mul_f32_dpp v240, v28, v240 row_newbcast:12 row_mask:0xf bank_mask:0xf// 000000004DDC: 0BE1E0FA FF015C1C
	v_mul_f32_dpp v241, v28, v241 row_newbcast:13 row_mask:0xf bank_mask:0xf// 000000004DE4: 0BE3E2FA FF015D1C
	v_mul_f32_dpp v242, v28, v242 row_newbcast:14 row_mask:0xf bank_mask:0xf// 000000004DEC: 0BE5E4FA FF015E1C
	v_mul_f32_dpp v243, v28, v243 row_newbcast:15 row_mask:0xf bank_mask:0xf// 000000004DF4: 0BE7E6FA FF015F1C
	v_cvt_f32_i32_e32 v244, v244                               // 000000004DFC: 7FE80BF4
	v_cvt_f32_i32_e32 v245, v245                               // 000000004E00: 7FEA0BF5
	v_cvt_f32_i32_e32 v246, v246                               // 000000004E04: 7FEC0BF6
	v_cvt_f32_i32_e32 v247, v247                               // 000000004E08: 7FEE0BF7
	v_mul_f32_dpp v244, v28, v244 row_newbcast:12 row_mask:0xf bank_mask:0xf// 000000004E0C: 0BE9E8FA FF015C1C
	v_mul_f32_dpp v245, v28, v245 row_newbcast:13 row_mask:0xf bank_mask:0xf// 000000004E14: 0BEBEAFA FF015D1C
	v_mul_f32_dpp v246, v28, v246 row_newbcast:14 row_mask:0xf bank_mask:0xf// 000000004E1C: 0BEDECFA FF015E1C
	v_mul_f32_dpp v247, v28, v247 row_newbcast:15 row_mask:0xf bank_mask:0xf// 000000004E24: 0BEFEEFA FF015F1C
	v_mov_b32_e32 v4, v32                                      // 000000004E2C: 7E080320
	v_mov_b32_e32 v5, v4                                       // 000000004E30: 7E0A0304
	v_pk_mul_f32 v[56:57], v[4:5], v[56:57]                    // 000000004E34: D3B14038 18027104
	v_pk_mul_f32 v[152:153], v[4:5], v[152:153]                // 000000004E3C: D3B14098 18033104
	v_pk_mul_f32 v[58:59], v[4:5], v[58:59]                    // 000000004E44: D3B1403A 18027504
	v_pk_mul_f32 v[154:155], v[4:5], v[154:155]                // 000000004E4C: D3B1409A 18033504
	v_pk_mul_f32 v[68:69], v[4:5], v[68:69]                    // 000000004E54: D3B14044 18028904
	v_pk_mul_f32 v[164:165], v[4:5], v[164:165]                // 000000004E5C: D3B140A4 18034904
	v_pk_mul_f32 v[70:71], v[4:5], v[70:71]                    // 000000004E64: D3B14046 18028D04
	v_pk_mul_f32 v[166:167], v[4:5], v[166:167]                // 000000004E6C: D3B140A6 18034D04
	v_pk_mul_f32 v[80:81], v[4:5], v[80:81]                    // 000000004E74: D3B14050 1802A104
	v_pk_mul_f32 v[176:177], v[4:5], v[176:177]                // 000000004E7C: D3B140B0 18036104
	v_pk_mul_f32 v[82:83], v[4:5], v[82:83]                    // 000000004E84: D3B14052 1802A504
	v_pk_mul_f32 v[178:179], v[4:5], v[178:179]                // 000000004E8C: D3B140B2 18036504
	v_pk_mul_f32 v[92:93], v[4:5], v[92:93]                    // 000000004E94: D3B1405C 1802B904
	v_pk_mul_f32 v[188:189], v[4:5], v[188:189]                // 000000004E9C: D3B140BC 18037904
	v_pk_mul_f32 v[94:95], v[4:5], v[94:95]                    // 000000004EA4: D3B1405E 1802BD04
	v_pk_mul_f32 v[190:191], v[4:5], v[190:191]                // 000000004EAC: D3B140BE 18037D04
	v_pk_mul_f32 v[104:105], v[4:5], v[104:105]                // 000000004EB4: D3B14068 1802D104
	v_pk_mul_f32 v[200:201], v[4:5], v[200:201]                // 000000004EBC: D3B140C8 18039104
	v_pk_mul_f32 v[106:107], v[4:5], v[106:107]                // 000000004EC4: D3B1406A 1802D504
	v_pk_mul_f32 v[202:203], v[4:5], v[202:203]                // 000000004ECC: D3B140CA 18039504
	v_pk_mul_f32 v[116:117], v[4:5], v[116:117]                // 000000004ED4: D3B14074 1802E904
	v_pk_mul_f32 v[212:213], v[4:5], v[212:213]                // 000000004EDC: D3B140D4 1803A904
	v_pk_mul_f32 v[118:119], v[4:5], v[118:119]                // 000000004EE4: D3B14076 1802ED04
	v_pk_mul_f32 v[214:215], v[4:5], v[214:215]                // 000000004EEC: D3B140D6 1803AD04
	v_pk_mul_f32 v[128:129], v[4:5], v[128:129]                // 000000004EF4: D3B14080 18030104
	v_pk_mul_f32 v[224:225], v[4:5], v[224:225]                // 000000004EFC: D3B140E0 1803C104
	v_pk_mul_f32 v[130:131], v[4:5], v[130:131]                // 000000004F04: D3B14082 18030504
	v_pk_mul_f32 v[226:227], v[4:5], v[226:227]                // 000000004F0C: D3B140E2 1803C504
	v_pk_mul_f32 v[140:141], v[4:5], v[140:141]                // 000000004F14: D3B1408C 18031904
	v_pk_mul_f32 v[236:237], v[4:5], v[236:237]                // 000000004F1C: D3B140EC 1803D904
	v_pk_mul_f32 v[142:143], v[4:5], v[142:143]                // 000000004F24: D3B1408E 18031D04
	v_pk_mul_f32 v[238:239], v[4:5], v[238:239]                // 000000004F2C: D3B140EE 1803DD04
	v_mov_b32_e32 v4, v33                                      // 000000004F34: 7E080321
	v_mov_b32_e32 v5, v4                                       // 000000004F38: 7E0A0304
	v_pk_mul_f32 v[60:61], v[4:5], v[60:61]                    // 000000004F3C: D3B1403C 18027904
	v_pk_mul_f32 v[156:157], v[4:5], v[156:157]                // 000000004F44: D3B1409C 18033904
	v_pk_mul_f32 v[62:63], v[4:5], v[62:63]                    // 000000004F4C: D3B1403E 18027D04
	v_pk_mul_f32 v[158:159], v[4:5], v[158:159]                // 000000004F54: D3B1409E 18033D04
	v_pk_mul_f32 v[72:73], v[4:5], v[72:73]                    // 000000004F5C: D3B14048 18029104
	v_pk_mul_f32 v[168:169], v[4:5], v[168:169]                // 000000004F64: D3B140A8 18035104
	v_pk_mul_f32 v[74:75], v[4:5], v[74:75]                    // 000000004F6C: D3B1404A 18029504
	v_pk_mul_f32 v[170:171], v[4:5], v[170:171]                // 000000004F74: D3B140AA 18035504
	v_pk_mul_f32 v[84:85], v[4:5], v[84:85]                    // 000000004F7C: D3B14054 1802A904
	v_pk_mul_f32 v[180:181], v[4:5], v[180:181]                // 000000004F84: D3B140B4 18036904
	v_pk_mul_f32 v[86:87], v[4:5], v[86:87]                    // 000000004F8C: D3B14056 1802AD04
	v_pk_mul_f32 v[182:183], v[4:5], v[182:183]                // 000000004F94: D3B140B6 18036D04
	v_pk_mul_f32 v[96:97], v[4:5], v[96:97]                    // 000000004F9C: D3B14060 1802C104
	v_pk_mul_f32 v[192:193], v[4:5], v[192:193]                // 000000004FA4: D3B140C0 18038104
	v_pk_mul_f32 v[98:99], v[4:5], v[98:99]                    // 000000004FAC: D3B14062 1802C504
	v_pk_mul_f32 v[194:195], v[4:5], v[194:195]                // 000000004FB4: D3B140C2 18038504
	v_pk_mul_f32 v[108:109], v[4:5], v[108:109]                // 000000004FBC: D3B1406C 1802D904
	v_pk_mul_f32 v[204:205], v[4:5], v[204:205]                // 000000004FC4: D3B140CC 18039904
	v_pk_mul_f32 v[110:111], v[4:5], v[110:111]                // 000000004FCC: D3B1406E 1802DD04
	v_pk_mul_f32 v[206:207], v[4:5], v[206:207]                // 000000004FD4: D3B140CE 18039D04
	v_pk_mul_f32 v[120:121], v[4:5], v[120:121]                // 000000004FDC: D3B14078 1802F104
	v_pk_mul_f32 v[216:217], v[4:5], v[216:217]                // 000000004FE4: D3B140D8 1803B104
	v_pk_mul_f32 v[122:123], v[4:5], v[122:123]                // 000000004FEC: D3B1407A 1802F504
	v_pk_mul_f32 v[218:219], v[4:5], v[218:219]                // 000000004FF4: D3B140DA 1803B504
	v_pk_mul_f32 v[132:133], v[4:5], v[132:133]                // 000000004FFC: D3B14084 18030904
	v_pk_mul_f32 v[228:229], v[4:5], v[228:229]                // 000000005004: D3B140E4 1803C904
	v_pk_mul_f32 v[134:135], v[4:5], v[134:135]                // 00000000500C: D3B14086 18030D04
	v_pk_mul_f32 v[230:231], v[4:5], v[230:231]                // 000000005014: D3B140E6 1803CD04
	v_pk_mul_f32 v[144:145], v[4:5], v[144:145]                // 00000000501C: D3B14090 18032104
	v_pk_mul_f32 v[240:241], v[4:5], v[240:241]                // 000000005024: D3B140F0 1803E104
	v_pk_mul_f32 v[146:147], v[4:5], v[146:147]                // 00000000502C: D3B14092 18032504
	v_pk_mul_f32 v[242:243], v[4:5], v[242:243]                // 000000005034: D3B140F2 1803E504
	v_mov_b32_e32 v4, v34                                      // 00000000503C: 7E080322
	v_mov_b32_e32 v5, v4                                       // 000000005040: 7E0A0304
	v_pk_mul_f32 v[64:65], v[4:5], v[64:65]                    // 000000005044: D3B14040 18028104
	v_pk_mul_f32 v[160:161], v[4:5], v[160:161]                // 00000000504C: D3B140A0 18034104
	v_pk_mul_f32 v[66:67], v[4:5], v[66:67]                    // 000000005054: D3B14042 18028504
	v_pk_mul_f32 v[162:163], v[4:5], v[162:163]                // 00000000505C: D3B140A2 18034504
	v_pk_mul_f32 v[76:77], v[4:5], v[76:77]                    // 000000005064: D3B1404C 18029904
	v_pk_mul_f32 v[172:173], v[4:5], v[172:173]                // 00000000506C: D3B140AC 18035904
	v_pk_mul_f32 v[78:79], v[4:5], v[78:79]                    // 000000005074: D3B1404E 18029D04
	v_pk_mul_f32 v[174:175], v[4:5], v[174:175]                // 00000000507C: D3B140AE 18035D04
	v_pk_mul_f32 v[88:89], v[4:5], v[88:89]                    // 000000005084: D3B14058 1802B104
	v_pk_mul_f32 v[184:185], v[4:5], v[184:185]                // 00000000508C: D3B140B8 18037104
	v_pk_mul_f32 v[90:91], v[4:5], v[90:91]                    // 000000005094: D3B1405A 1802B504
	v_pk_mul_f32 v[186:187], v[4:5], v[186:187]                // 00000000509C: D3B140BA 18037504
	v_pk_mul_f32 v[100:101], v[4:5], v[100:101]                // 0000000050A4: D3B14064 1802C904
	v_pk_mul_f32 v[196:197], v[4:5], v[196:197]                // 0000000050AC: D3B140C4 18038904
	v_pk_mul_f32 v[102:103], v[4:5], v[102:103]                // 0000000050B4: D3B14066 1802CD04
	v_pk_mul_f32 v[198:199], v[4:5], v[198:199]                // 0000000050BC: D3B140C6 18038D04
	v_pk_mul_f32 v[112:113], v[4:5], v[112:113]                // 0000000050C4: D3B14070 1802E104
	v_pk_mul_f32 v[208:209], v[4:5], v[208:209]                // 0000000050CC: D3B140D0 1803A104
	v_pk_mul_f32 v[114:115], v[4:5], v[114:115]                // 0000000050D4: D3B14072 1802E504
	v_pk_mul_f32 v[210:211], v[4:5], v[210:211]                // 0000000050DC: D3B140D2 1803A504
	v_pk_mul_f32 v[124:125], v[4:5], v[124:125]                // 0000000050E4: D3B1407C 1802F904
	v_pk_mul_f32 v[220:221], v[4:5], v[220:221]                // 0000000050EC: D3B140DC 1803B904
	v_pk_mul_f32 v[126:127], v[4:5], v[126:127]                // 0000000050F4: D3B1407E 1802FD04
	v_pk_mul_f32 v[222:223], v[4:5], v[222:223]                // 0000000050FC: D3B140DE 1803BD04
	v_pk_mul_f32 v[136:137], v[4:5], v[136:137]                // 000000005104: D3B14088 18031104
	v_pk_mul_f32 v[232:233], v[4:5], v[232:233]                // 00000000510C: D3B140E8 1803D104
	v_pk_mul_f32 v[138:139], v[4:5], v[138:139]                // 000000005114: D3B1408A 18031504
	v_pk_mul_f32 v[234:235], v[4:5], v[234:235]                // 00000000511C: D3B140EA 1803D504
	v_pk_mul_f32 v[148:149], v[4:5], v[148:149]                // 000000005124: D3B14094 18032904
	v_pk_mul_f32 v[244:245], v[4:5], v[244:245]                // 00000000512C: D3B140F4 1803E904
	v_pk_mul_f32 v[150:151], v[4:5], v[150:151]                // 000000005134: D3B14096 18032D04
	v_pk_mul_f32 v[246:247], v[4:5], v[246:247]                // 00000000513C: D3B140F6 1803ED04
	s_cmp_eq_u32 s88, 0                                        // 000000005144: BF068058
	s_cbranch_scc0 label_1528                                  // 000000005148: BF840B55
	s_cmp_eq_u32 s89, 0                                        // 00000000514C: BF068059
	s_cbranch_scc1 label_0D9A                                  // 000000005150: BF8503C5
	v_mov_b32_e32 v8, v1                                       // 000000005154: 7E100301
	v_mov_b32_e32 v9, v1                                       // 000000005158: 7E120301
	s_mov_b32 s60, s6                                          // 00000000515C: BEBC0006
	s_mov_b32 s61, s6                                          // 000000005160: BEBD0006
	v_pk_mul_f32 v[4:5], v[56:57], v[56:57]                    // 000000005164: D3B14004 18027138
	v_pk_mul_f32 v[6:7], v[58:59], v[58:59]                    // 00000000516C: D3B14006 1802753A
	v_pk_fma_f32 v[4:5], v[4:5], s[78:79], v[8:9]              // 000000005174: D3B04004 1C209D04
	v_pk_fma_f32 v[6:7], v[6:7], s[78:79], v[8:9]              // 00000000517C: D3B04006 1C209D06
	v_pk_mul_f32 v[4:5], v[4:5], v[56:57]                      // 000000005184: D3B14004 18027104
	v_pk_mul_f32 v[6:7], v[6:7], v[58:59]                      // 00000000518C: D3B14006 18027506
	v_pk_mul_f32 v[4:5], v[4:5], s[60:61]                      // 000000005194: D3B14004 18007904
	v_pk_mul_f32 v[6:7], v[6:7], s[60:61]                      // 00000000519C: D3B14006 18007906
	v_exp_f32_e32 v4, v4                                       // 0000000051A4: 7E084104
	v_exp_f32_e32 v5, v5                                       // 0000000051A8: 7E0A4105
	v_exp_f32_e32 v6, v6                                       // 0000000051AC: 7E0C4106
	v_exp_f32_e32 v7, v7                                       // 0000000051B0: 7E0E4107
	v_add_f32_e64 v4, v4, 1.0                                  // 0000000051B4: D1010004 0001E504
	v_add_f32_e64 v5, v5, 1.0                                  // 0000000051BC: D1010005 0001E505
	v_add_f32_e64 v6, v6, 1.0                                  // 0000000051C4: D1010006 0001E506
	v_add_f32_e64 v7, v7, 1.0                                  // 0000000051CC: D1010007 0001E507
	v_rcp_f32_e32 v4, v4                                       // 0000000051D4: 7E084504
	v_rcp_f32_e32 v5, v5                                       // 0000000051D8: 7E0A4505
	v_rcp_f32_e32 v6, v6                                       // 0000000051DC: 7E0C4506
	v_rcp_f32_e32 v7, v7                                       // 0000000051E0: 7E0E4507
	v_mul_f32_e32 v56, v56, v4                                 // 0000000051E4: 0A700938
	v_mul_f32_e32 v57, v57, v5                                 // 0000000051E8: 0A720B39
	v_mul_f32_e32 v58, v58, v6                                 // 0000000051EC: 0A740D3A
	v_mul_f32_e32 v59, v59, v7                                 // 0000000051F0: 0A760F3B
	v_mul_f32_e32 v56, v56, v152                               // 0000000051F4: 0A713138
	v_mul_f32_e32 v57, v57, v153                               // 0000000051F8: 0A733339
	v_mul_f32_e32 v58, v58, v154                               // 0000000051FC: 0A75353A
	v_mul_f32_e32 v59, v59, v155                               // 000000005200: 0A77373B
	v_pk_mul_f32 v[4:5], v[60:61], v[60:61]                    // 000000005204: D3B14004 1802793C
	v_pk_mul_f32 v[6:7], v[62:63], v[62:63]                    // 00000000520C: D3B14006 18027D3E
	v_pk_fma_f32 v[4:5], v[4:5], s[78:79], v[8:9]              // 000000005214: D3B04004 1C209D04
	v_pk_fma_f32 v[6:7], v[6:7], s[78:79], v[8:9]              // 00000000521C: D3B04006 1C209D06
	v_pk_mul_f32 v[4:5], v[4:5], v[60:61]                      // 000000005224: D3B14004 18027904
	v_pk_mul_f32 v[6:7], v[6:7], v[62:63]                      // 00000000522C: D3B14006 18027D06
	v_pk_mul_f32 v[4:5], v[4:5], s[60:61]                      // 000000005234: D3B14004 18007904
	v_pk_mul_f32 v[6:7], v[6:7], s[60:61]                      // 00000000523C: D3B14006 18007906
	v_exp_f32_e32 v4, v4                                       // 000000005244: 7E084104
	v_exp_f32_e32 v5, v5                                       // 000000005248: 7E0A4105
	v_exp_f32_e32 v6, v6                                       // 00000000524C: 7E0C4106
	v_exp_f32_e32 v7, v7                                       // 000000005250: 7E0E4107
	v_add_f32_e64 v4, v4, 1.0                                  // 000000005254: D1010004 0001E504
	v_add_f32_e64 v5, v5, 1.0                                  // 00000000525C: D1010005 0001E505
	v_add_f32_e64 v6, v6, 1.0                                  // 000000005264: D1010006 0001E506
	v_add_f32_e64 v7, v7, 1.0                                  // 00000000526C: D1010007 0001E507
	v_rcp_f32_e32 v4, v4                                       // 000000005274: 7E084504
	v_rcp_f32_e32 v5, v5                                       // 000000005278: 7E0A4505
	v_rcp_f32_e32 v6, v6                                       // 00000000527C: 7E0C4506
	v_rcp_f32_e32 v7, v7                                       // 000000005280: 7E0E4507
	v_mul_f32_e32 v60, v60, v4                                 // 000000005284: 0A78093C
	v_mul_f32_e32 v61, v61, v5                                 // 000000005288: 0A7A0B3D
	v_mul_f32_e32 v62, v62, v6                                 // 00000000528C: 0A7C0D3E
	v_mul_f32_e32 v63, v63, v7                                 // 000000005290: 0A7E0F3F
	v_mul_f32_e32 v60, v60, v156                               // 000000005294: 0A79393C
	v_mul_f32_e32 v61, v61, v157                               // 000000005298: 0A7B3B3D
	v_mul_f32_e32 v62, v62, v158                               // 00000000529C: 0A7D3D3E
	v_mul_f32_e32 v63, v63, v159                               // 0000000052A0: 0A7F3F3F
	v_pk_mul_f32 v[4:5], v[64:65], v[64:65]                    // 0000000052A4: D3B14004 18028140
	v_pk_mul_f32 v[6:7], v[66:67], v[66:67]                    // 0000000052AC: D3B14006 18028542
	v_pk_fma_f32 v[4:5], v[4:5], s[78:79], v[8:9]              // 0000000052B4: D3B04004 1C209D04
	v_pk_fma_f32 v[6:7], v[6:7], s[78:79], v[8:9]              // 0000000052BC: D3B04006 1C209D06
	v_pk_mul_f32 v[4:5], v[4:5], v[64:65]                      // 0000000052C4: D3B14004 18028104
	v_pk_mul_f32 v[6:7], v[6:7], v[66:67]                      // 0000000052CC: D3B14006 18028506
	v_pk_mul_f32 v[4:5], v[4:5], s[60:61]                      // 0000000052D4: D3B14004 18007904
	v_pk_mul_f32 v[6:7], v[6:7], s[60:61]                      // 0000000052DC: D3B14006 18007906
	v_exp_f32_e32 v4, v4                                       // 0000000052E4: 7E084104
	v_exp_f32_e32 v5, v5                                       // 0000000052E8: 7E0A4105
	v_exp_f32_e32 v6, v6                                       // 0000000052EC: 7E0C4106
	v_exp_f32_e32 v7, v7                                       // 0000000052F0: 7E0E4107
	v_add_f32_e64 v4, v4, 1.0                                  // 0000000052F4: D1010004 0001E504
	v_add_f32_e64 v5, v5, 1.0                                  // 0000000052FC: D1010005 0001E505
	v_add_f32_e64 v6, v6, 1.0                                  // 000000005304: D1010006 0001E506
	v_add_f32_e64 v7, v7, 1.0                                  // 00000000530C: D1010007 0001E507
	v_rcp_f32_e32 v4, v4                                       // 000000005314: 7E084504
	v_rcp_f32_e32 v5, v5                                       // 000000005318: 7E0A4505
	v_rcp_f32_e32 v6, v6                                       // 00000000531C: 7E0C4506
	v_rcp_f32_e32 v7, v7                                       // 000000005320: 7E0E4507
	v_mul_f32_e32 v64, v64, v4                                 // 000000005324: 0A800940
	v_mul_f32_e32 v65, v65, v5                                 // 000000005328: 0A820B41
	v_mul_f32_e32 v66, v66, v6                                 // 00000000532C: 0A840D42
	v_mul_f32_e32 v67, v67, v7                                 // 000000005330: 0A860F43
	v_mul_f32_e32 v64, v64, v160                               // 000000005334: 0A814140
	v_mul_f32_e32 v65, v65, v161                               // 000000005338: 0A834341
	v_mul_f32_e32 v66, v66, v162                               // 00000000533C: 0A854542
	v_mul_f32_e32 v67, v67, v163                               // 000000005340: 0A874743
	v_pk_mul_f32 v[4:5], v[68:69], v[68:69]                    // 000000005344: D3B14004 18028944
	v_pk_mul_f32 v[6:7], v[70:71], v[70:71]                    // 00000000534C: D3B14006 18028D46
	v_pk_fma_f32 v[4:5], v[4:5], s[78:79], v[8:9]              // 000000005354: D3B04004 1C209D04
	v_pk_fma_f32 v[6:7], v[6:7], s[78:79], v[8:9]              // 00000000535C: D3B04006 1C209D06
	v_pk_mul_f32 v[4:5], v[4:5], v[68:69]                      // 000000005364: D3B14004 18028904
	v_pk_mul_f32 v[6:7], v[6:7], v[70:71]                      // 00000000536C: D3B14006 18028D06
	v_pk_mul_f32 v[4:5], v[4:5], s[60:61]                      // 000000005374: D3B14004 18007904
	v_pk_mul_f32 v[6:7], v[6:7], s[60:61]                      // 00000000537C: D3B14006 18007906
	v_exp_f32_e32 v4, v4                                       // 000000005384: 7E084104
	v_exp_f32_e32 v5, v5                                       // 000000005388: 7E0A4105
	v_exp_f32_e32 v6, v6                                       // 00000000538C: 7E0C4106
	v_exp_f32_e32 v7, v7                                       // 000000005390: 7E0E4107
	v_add_f32_e64 v4, v4, 1.0                                  // 000000005394: D1010004 0001E504
	v_add_f32_e64 v5, v5, 1.0                                  // 00000000539C: D1010005 0001E505
	v_add_f32_e64 v6, v6, 1.0                                  // 0000000053A4: D1010006 0001E506
	v_add_f32_e64 v7, v7, 1.0                                  // 0000000053AC: D1010007 0001E507
	v_rcp_f32_e32 v4, v4                                       // 0000000053B4: 7E084504
	v_rcp_f32_e32 v5, v5                                       // 0000000053B8: 7E0A4505
	v_rcp_f32_e32 v6, v6                                       // 0000000053BC: 7E0C4506
	v_rcp_f32_e32 v7, v7                                       // 0000000053C0: 7E0E4507
	v_mul_f32_e32 v68, v68, v4                                 // 0000000053C4: 0A880944
	v_mul_f32_e32 v69, v69, v5                                 // 0000000053C8: 0A8A0B45
	v_mul_f32_e32 v70, v70, v6                                 // 0000000053CC: 0A8C0D46
	v_mul_f32_e32 v71, v71, v7                                 // 0000000053D0: 0A8E0F47
	v_mul_f32_e32 v68, v68, v164                               // 0000000053D4: 0A894944
	v_mul_f32_e32 v69, v69, v165                               // 0000000053D8: 0A8B4B45
	v_mul_f32_e32 v70, v70, v166                               // 0000000053DC: 0A8D4D46
	v_mul_f32_e32 v71, v71, v167                               // 0000000053E0: 0A8F4F47
	v_pk_mul_f32 v[4:5], v[72:73], v[72:73]                    // 0000000053E4: D3B14004 18029148
	v_pk_mul_f32 v[6:7], v[74:75], v[74:75]                    // 0000000053EC: D3B14006 1802954A
	v_pk_fma_f32 v[4:5], v[4:5], s[78:79], v[8:9]              // 0000000053F4: D3B04004 1C209D04
	v_pk_fma_f32 v[6:7], v[6:7], s[78:79], v[8:9]              // 0000000053FC: D3B04006 1C209D06
	v_pk_mul_f32 v[4:5], v[4:5], v[72:73]                      // 000000005404: D3B14004 18029104
	v_pk_mul_f32 v[6:7], v[6:7], v[74:75]                      // 00000000540C: D3B14006 18029506
	v_pk_mul_f32 v[4:5], v[4:5], s[60:61]                      // 000000005414: D3B14004 18007904
	v_pk_mul_f32 v[6:7], v[6:7], s[60:61]                      // 00000000541C: D3B14006 18007906
	v_exp_f32_e32 v4, v4                                       // 000000005424: 7E084104
	v_exp_f32_e32 v5, v5                                       // 000000005428: 7E0A4105
	v_exp_f32_e32 v6, v6                                       // 00000000542C: 7E0C4106
	v_exp_f32_e32 v7, v7                                       // 000000005430: 7E0E4107
	v_add_f32_e64 v4, v4, 1.0                                  // 000000005434: D1010004 0001E504
	v_add_f32_e64 v5, v5, 1.0                                  // 00000000543C: D1010005 0001E505
	v_add_f32_e64 v6, v6, 1.0                                  // 000000005444: D1010006 0001E506
	v_add_f32_e64 v7, v7, 1.0                                  // 00000000544C: D1010007 0001E507
	v_rcp_f32_e32 v4, v4                                       // 000000005454: 7E084504
	v_rcp_f32_e32 v5, v5                                       // 000000005458: 7E0A4505
	v_rcp_f32_e32 v6, v6                                       // 00000000545C: 7E0C4506
	v_rcp_f32_e32 v7, v7                                       // 000000005460: 7E0E4507
	v_mul_f32_e32 v72, v72, v4                                 // 000000005464: 0A900948
	v_mul_f32_e32 v73, v73, v5                                 // 000000005468: 0A920B49
	v_mul_f32_e32 v74, v74, v6                                 // 00000000546C: 0A940D4A
	v_mul_f32_e32 v75, v75, v7                                 // 000000005470: 0A960F4B
	v_mul_f32_e32 v72, v72, v168                               // 000000005474: 0A915148
	v_mul_f32_e32 v73, v73, v169                               // 000000005478: 0A935349
	v_mul_f32_e32 v74, v74, v170                               // 00000000547C: 0A95554A
	v_mul_f32_e32 v75, v75, v171                               // 000000005480: 0A97574B
	v_pk_mul_f32 v[4:5], v[76:77], v[76:77]                    // 000000005484: D3B14004 1802994C
	v_pk_mul_f32 v[6:7], v[78:79], v[78:79]                    // 00000000548C: D3B14006 18029D4E
	v_pk_fma_f32 v[4:5], v[4:5], s[78:79], v[8:9]              // 000000005494: D3B04004 1C209D04
	v_pk_fma_f32 v[6:7], v[6:7], s[78:79], v[8:9]              // 00000000549C: D3B04006 1C209D06
	v_pk_mul_f32 v[4:5], v[4:5], v[76:77]                      // 0000000054A4: D3B14004 18029904
	v_pk_mul_f32 v[6:7], v[6:7], v[78:79]                      // 0000000054AC: D3B14006 18029D06
	v_pk_mul_f32 v[4:5], v[4:5], s[60:61]                      // 0000000054B4: D3B14004 18007904
	v_pk_mul_f32 v[6:7], v[6:7], s[60:61]                      // 0000000054BC: D3B14006 18007906
	v_exp_f32_e32 v4, v4                                       // 0000000054C4: 7E084104
	v_exp_f32_e32 v5, v5                                       // 0000000054C8: 7E0A4105
	v_exp_f32_e32 v6, v6                                       // 0000000054CC: 7E0C4106
	v_exp_f32_e32 v7, v7                                       // 0000000054D0: 7E0E4107
	v_add_f32_e64 v4, v4, 1.0                                  // 0000000054D4: D1010004 0001E504
	v_add_f32_e64 v5, v5, 1.0                                  // 0000000054DC: D1010005 0001E505
	v_add_f32_e64 v6, v6, 1.0                                  // 0000000054E4: D1010006 0001E506
	v_add_f32_e64 v7, v7, 1.0                                  // 0000000054EC: D1010007 0001E507
	v_rcp_f32_e32 v4, v4                                       // 0000000054F4: 7E084504
	v_rcp_f32_e32 v5, v5                                       // 0000000054F8: 7E0A4505
	v_rcp_f32_e32 v6, v6                                       // 0000000054FC: 7E0C4506
	v_rcp_f32_e32 v7, v7                                       // 000000005500: 7E0E4507
	v_mul_f32_e32 v76, v76, v4                                 // 000000005504: 0A98094C
	v_mul_f32_e32 v77, v77, v5                                 // 000000005508: 0A9A0B4D
	v_mul_f32_e32 v78, v78, v6                                 // 00000000550C: 0A9C0D4E
	v_mul_f32_e32 v79, v79, v7                                 // 000000005510: 0A9E0F4F
	v_mul_f32_e32 v76, v76, v172                               // 000000005514: 0A99594C
	v_mul_f32_e32 v77, v77, v173                               // 000000005518: 0A9B5B4D
	v_mul_f32_e32 v78, v78, v174                               // 00000000551C: 0A9D5D4E
	v_mul_f32_e32 v79, v79, v175                               // 000000005520: 0A9F5F4F
	v_pk_mul_f32 v[4:5], v[80:81], v[80:81]                    // 000000005524: D3B14004 1802A150
	v_pk_mul_f32 v[6:7], v[82:83], v[82:83]                    // 00000000552C: D3B14006 1802A552
	v_pk_fma_f32 v[4:5], v[4:5], s[78:79], v[8:9]              // 000000005534: D3B04004 1C209D04
	v_pk_fma_f32 v[6:7], v[6:7], s[78:79], v[8:9]              // 00000000553C: D3B04006 1C209D06
	v_pk_mul_f32 v[4:5], v[4:5], v[80:81]                      // 000000005544: D3B14004 1802A104
	v_pk_mul_f32 v[6:7], v[6:7], v[82:83]                      // 00000000554C: D3B14006 1802A506
	v_pk_mul_f32 v[4:5], v[4:5], s[60:61]                      // 000000005554: D3B14004 18007904
	v_pk_mul_f32 v[6:7], v[6:7], s[60:61]                      // 00000000555C: D3B14006 18007906
	v_exp_f32_e32 v4, v4                                       // 000000005564: 7E084104
	v_exp_f32_e32 v5, v5                                       // 000000005568: 7E0A4105
	v_exp_f32_e32 v6, v6                                       // 00000000556C: 7E0C4106
	v_exp_f32_e32 v7, v7                                       // 000000005570: 7E0E4107
	v_add_f32_e64 v4, v4, 1.0                                  // 000000005574: D1010004 0001E504
	v_add_f32_e64 v5, v5, 1.0                                  // 00000000557C: D1010005 0001E505
	v_add_f32_e64 v6, v6, 1.0                                  // 000000005584: D1010006 0001E506
	v_add_f32_e64 v7, v7, 1.0                                  // 00000000558C: D1010007 0001E507
	v_rcp_f32_e32 v4, v4                                       // 000000005594: 7E084504
	v_rcp_f32_e32 v5, v5                                       // 000000005598: 7E0A4505
	v_rcp_f32_e32 v6, v6                                       // 00000000559C: 7E0C4506
	v_rcp_f32_e32 v7, v7                                       // 0000000055A0: 7E0E4507
	v_mul_f32_e32 v80, v80, v4                                 // 0000000055A4: 0AA00950
	v_mul_f32_e32 v81, v81, v5                                 // 0000000055A8: 0AA20B51
	v_mul_f32_e32 v82, v82, v6                                 // 0000000055AC: 0AA40D52
	v_mul_f32_e32 v83, v83, v7                                 // 0000000055B0: 0AA60F53
	v_mul_f32_e32 v80, v80, v176                               // 0000000055B4: 0AA16150
	v_mul_f32_e32 v81, v81, v177                               // 0000000055B8: 0AA36351
	v_mul_f32_e32 v82, v82, v178                               // 0000000055BC: 0AA56552
	v_mul_f32_e32 v83, v83, v179                               // 0000000055C0: 0AA76753
	v_pk_mul_f32 v[4:5], v[84:85], v[84:85]                    // 0000000055C4: D3B14004 1802A954
	v_pk_mul_f32 v[6:7], v[86:87], v[86:87]                    // 0000000055CC: D3B14006 1802AD56
	v_pk_fma_f32 v[4:5], v[4:5], s[78:79], v[8:9]              // 0000000055D4: D3B04004 1C209D04
	v_pk_fma_f32 v[6:7], v[6:7], s[78:79], v[8:9]              // 0000000055DC: D3B04006 1C209D06
	v_pk_mul_f32 v[4:5], v[4:5], v[84:85]                      // 0000000055E4: D3B14004 1802A904
	v_pk_mul_f32 v[6:7], v[6:7], v[86:87]                      // 0000000055EC: D3B14006 1802AD06
	v_pk_mul_f32 v[4:5], v[4:5], s[60:61]                      // 0000000055F4: D3B14004 18007904
	v_pk_mul_f32 v[6:7], v[6:7], s[60:61]                      // 0000000055FC: D3B14006 18007906
	v_exp_f32_e32 v4, v4                                       // 000000005604: 7E084104
	v_exp_f32_e32 v5, v5                                       // 000000005608: 7E0A4105
	v_exp_f32_e32 v6, v6                                       // 00000000560C: 7E0C4106
	v_exp_f32_e32 v7, v7                                       // 000000005610: 7E0E4107
	v_add_f32_e64 v4, v4, 1.0                                  // 000000005614: D1010004 0001E504
	v_add_f32_e64 v5, v5, 1.0                                  // 00000000561C: D1010005 0001E505
	v_add_f32_e64 v6, v6, 1.0                                  // 000000005624: D1010006 0001E506
	v_add_f32_e64 v7, v7, 1.0                                  // 00000000562C: D1010007 0001E507
	v_rcp_f32_e32 v4, v4                                       // 000000005634: 7E084504
	v_rcp_f32_e32 v5, v5                                       // 000000005638: 7E0A4505
	v_rcp_f32_e32 v6, v6                                       // 00000000563C: 7E0C4506
	v_rcp_f32_e32 v7, v7                                       // 000000005640: 7E0E4507
	v_mul_f32_e32 v84, v84, v4                                 // 000000005644: 0AA80954
	v_mul_f32_e32 v85, v85, v5                                 // 000000005648: 0AAA0B55
	v_mul_f32_e32 v86, v86, v6                                 // 00000000564C: 0AAC0D56
	v_mul_f32_e32 v87, v87, v7                                 // 000000005650: 0AAE0F57
	v_mul_f32_e32 v84, v84, v180                               // 000000005654: 0AA96954
	v_mul_f32_e32 v85, v85, v181                               // 000000005658: 0AAB6B55
	v_mul_f32_e32 v86, v86, v182                               // 00000000565C: 0AAD6D56
	v_mul_f32_e32 v87, v87, v183                               // 000000005660: 0AAF6F57
	v_pk_mul_f32 v[4:5], v[88:89], v[88:89]                    // 000000005664: D3B14004 1802B158
	v_pk_mul_f32 v[6:7], v[90:91], v[90:91]                    // 00000000566C: D3B14006 1802B55A
	v_pk_fma_f32 v[4:5], v[4:5], s[78:79], v[8:9]              // 000000005674: D3B04004 1C209D04
	v_pk_fma_f32 v[6:7], v[6:7], s[78:79], v[8:9]              // 00000000567C: D3B04006 1C209D06
	v_pk_mul_f32 v[4:5], v[4:5], v[88:89]                      // 000000005684: D3B14004 1802B104
	v_pk_mul_f32 v[6:7], v[6:7], v[90:91]                      // 00000000568C: D3B14006 1802B506
	v_pk_mul_f32 v[4:5], v[4:5], s[60:61]                      // 000000005694: D3B14004 18007904
	v_pk_mul_f32 v[6:7], v[6:7], s[60:61]                      // 00000000569C: D3B14006 18007906
	v_exp_f32_e32 v4, v4                                       // 0000000056A4: 7E084104
	v_exp_f32_e32 v5, v5                                       // 0000000056A8: 7E0A4105
	v_exp_f32_e32 v6, v6                                       // 0000000056AC: 7E0C4106
	v_exp_f32_e32 v7, v7                                       // 0000000056B0: 7E0E4107
	v_add_f32_e64 v4, v4, 1.0                                  // 0000000056B4: D1010004 0001E504
	v_add_f32_e64 v5, v5, 1.0                                  // 0000000056BC: D1010005 0001E505
	v_add_f32_e64 v6, v6, 1.0                                  // 0000000056C4: D1010006 0001E506
	v_add_f32_e64 v7, v7, 1.0                                  // 0000000056CC: D1010007 0001E507
	v_rcp_f32_e32 v4, v4                                       // 0000000056D4: 7E084504
	v_rcp_f32_e32 v5, v5                                       // 0000000056D8: 7E0A4505
	v_rcp_f32_e32 v6, v6                                       // 0000000056DC: 7E0C4506
	v_rcp_f32_e32 v7, v7                                       // 0000000056E0: 7E0E4507
	v_mul_f32_e32 v88, v88, v4                                 // 0000000056E4: 0AB00958
	v_mul_f32_e32 v89, v89, v5                                 // 0000000056E8: 0AB20B59
	v_mul_f32_e32 v90, v90, v6                                 // 0000000056EC: 0AB40D5A
	v_mul_f32_e32 v91, v91, v7                                 // 0000000056F0: 0AB60F5B
	v_mul_f32_e32 v88, v88, v184                               // 0000000056F4: 0AB17158
	v_mul_f32_e32 v89, v89, v185                               // 0000000056F8: 0AB37359
	v_mul_f32_e32 v90, v90, v186                               // 0000000056FC: 0AB5755A
	v_mul_f32_e32 v91, v91, v187                               // 000000005700: 0AB7775B
	v_pk_mul_f32 v[4:5], v[92:93], v[92:93]                    // 000000005704: D3B14004 1802B95C
	v_pk_mul_f32 v[6:7], v[94:95], v[94:95]                    // 00000000570C: D3B14006 1802BD5E
	v_pk_fma_f32 v[4:5], v[4:5], s[78:79], v[8:9]              // 000000005714: D3B04004 1C209D04
	v_pk_fma_f32 v[6:7], v[6:7], s[78:79], v[8:9]              // 00000000571C: D3B04006 1C209D06
	v_pk_mul_f32 v[4:5], v[4:5], v[92:93]                      // 000000005724: D3B14004 1802B904
	v_pk_mul_f32 v[6:7], v[6:7], v[94:95]                      // 00000000572C: D3B14006 1802BD06
	v_pk_mul_f32 v[4:5], v[4:5], s[60:61]                      // 000000005734: D3B14004 18007904
	v_pk_mul_f32 v[6:7], v[6:7], s[60:61]                      // 00000000573C: D3B14006 18007906
	v_exp_f32_e32 v4, v4                                       // 000000005744: 7E084104
	v_exp_f32_e32 v5, v5                                       // 000000005748: 7E0A4105
	v_exp_f32_e32 v6, v6                                       // 00000000574C: 7E0C4106
	v_exp_f32_e32 v7, v7                                       // 000000005750: 7E0E4107
	v_add_f32_e64 v4, v4, 1.0                                  // 000000005754: D1010004 0001E504
	v_add_f32_e64 v5, v5, 1.0                                  // 00000000575C: D1010005 0001E505
	v_add_f32_e64 v6, v6, 1.0                                  // 000000005764: D1010006 0001E506
	v_add_f32_e64 v7, v7, 1.0                                  // 00000000576C: D1010007 0001E507
	v_rcp_f32_e32 v4, v4                                       // 000000005774: 7E084504
	v_rcp_f32_e32 v5, v5                                       // 000000005778: 7E0A4505
	v_rcp_f32_e32 v6, v6                                       // 00000000577C: 7E0C4506
	v_rcp_f32_e32 v7, v7                                       // 000000005780: 7E0E4507
	v_mul_f32_e32 v92, v92, v4                                 // 000000005784: 0AB8095C
	v_mul_f32_e32 v93, v93, v5                                 // 000000005788: 0ABA0B5D
	v_mul_f32_e32 v94, v94, v6                                 // 00000000578C: 0ABC0D5E
	v_mul_f32_e32 v95, v95, v7                                 // 000000005790: 0ABE0F5F
	v_mul_f32_e32 v92, v92, v188                               // 000000005794: 0AB9795C
	v_mul_f32_e32 v93, v93, v189                               // 000000005798: 0ABB7B5D
	v_mul_f32_e32 v94, v94, v190                               // 00000000579C: 0ABD7D5E
	v_mul_f32_e32 v95, v95, v191                               // 0000000057A0: 0ABF7F5F
	v_pk_mul_f32 v[4:5], v[96:97], v[96:97]                    // 0000000057A4: D3B14004 1802C160
	v_pk_mul_f32 v[6:7], v[98:99], v[98:99]                    // 0000000057AC: D3B14006 1802C562
	v_pk_fma_f32 v[4:5], v[4:5], s[78:79], v[8:9]              // 0000000057B4: D3B04004 1C209D04
	v_pk_fma_f32 v[6:7], v[6:7], s[78:79], v[8:9]              // 0000000057BC: D3B04006 1C209D06
	v_pk_mul_f32 v[4:5], v[4:5], v[96:97]                      // 0000000057C4: D3B14004 1802C104
	v_pk_mul_f32 v[6:7], v[6:7], v[98:99]                      // 0000000057CC: D3B14006 1802C506
	v_pk_mul_f32 v[4:5], v[4:5], s[60:61]                      // 0000000057D4: D3B14004 18007904
	v_pk_mul_f32 v[6:7], v[6:7], s[60:61]                      // 0000000057DC: D3B14006 18007906
	v_exp_f32_e32 v4, v4                                       // 0000000057E4: 7E084104
	v_exp_f32_e32 v5, v5                                       // 0000000057E8: 7E0A4105
	v_exp_f32_e32 v6, v6                                       // 0000000057EC: 7E0C4106
	v_exp_f32_e32 v7, v7                                       // 0000000057F0: 7E0E4107
	v_add_f32_e64 v4, v4, 1.0                                  // 0000000057F4: D1010004 0001E504
	v_add_f32_e64 v5, v5, 1.0                                  // 0000000057FC: D1010005 0001E505
	v_add_f32_e64 v6, v6, 1.0                                  // 000000005804: D1010006 0001E506
	v_add_f32_e64 v7, v7, 1.0                                  // 00000000580C: D1010007 0001E507
	v_rcp_f32_e32 v4, v4                                       // 000000005814: 7E084504
	v_rcp_f32_e32 v5, v5                                       // 000000005818: 7E0A4505
	v_rcp_f32_e32 v6, v6                                       // 00000000581C: 7E0C4506
	v_rcp_f32_e32 v7, v7                                       // 000000005820: 7E0E4507
	v_mul_f32_e32 v96, v96, v4                                 // 000000005824: 0AC00960
	v_mul_f32_e32 v97, v97, v5                                 // 000000005828: 0AC20B61
	v_mul_f32_e32 v98, v98, v6                                 // 00000000582C: 0AC40D62
	v_mul_f32_e32 v99, v99, v7                                 // 000000005830: 0AC60F63
	v_mul_f32_e32 v96, v96, v192                               // 000000005834: 0AC18160
	v_mul_f32_e32 v97, v97, v193                               // 000000005838: 0AC38361
	v_mul_f32_e32 v98, v98, v194                               // 00000000583C: 0AC58562
	v_mul_f32_e32 v99, v99, v195                               // 000000005840: 0AC78763
	v_pk_mul_f32 v[4:5], v[100:101], v[100:101]                // 000000005844: D3B14004 1802C964
	v_pk_mul_f32 v[6:7], v[102:103], v[102:103]                // 00000000584C: D3B14006 1802CD66
	v_pk_fma_f32 v[4:5], v[4:5], s[78:79], v[8:9]              // 000000005854: D3B04004 1C209D04
	v_pk_fma_f32 v[6:7], v[6:7], s[78:79], v[8:9]              // 00000000585C: D3B04006 1C209D06
	v_pk_mul_f32 v[4:5], v[4:5], v[100:101]                    // 000000005864: D3B14004 1802C904
	v_pk_mul_f32 v[6:7], v[6:7], v[102:103]                    // 00000000586C: D3B14006 1802CD06
	v_pk_mul_f32 v[4:5], v[4:5], s[60:61]                      // 000000005874: D3B14004 18007904
	v_pk_mul_f32 v[6:7], v[6:7], s[60:61]                      // 00000000587C: D3B14006 18007906
	v_exp_f32_e32 v4, v4                                       // 000000005884: 7E084104
	v_exp_f32_e32 v5, v5                                       // 000000005888: 7E0A4105
	v_exp_f32_e32 v6, v6                                       // 00000000588C: 7E0C4106
	v_exp_f32_e32 v7, v7                                       // 000000005890: 7E0E4107
	v_add_f32_e64 v4, v4, 1.0                                  // 000000005894: D1010004 0001E504
	v_add_f32_e64 v5, v5, 1.0                                  // 00000000589C: D1010005 0001E505
	v_add_f32_e64 v6, v6, 1.0                                  // 0000000058A4: D1010006 0001E506
	v_add_f32_e64 v7, v7, 1.0                                  // 0000000058AC: D1010007 0001E507
	v_rcp_f32_e32 v4, v4                                       // 0000000058B4: 7E084504
	v_rcp_f32_e32 v5, v5                                       // 0000000058B8: 7E0A4505
	v_rcp_f32_e32 v6, v6                                       // 0000000058BC: 7E0C4506
	v_rcp_f32_e32 v7, v7                                       // 0000000058C0: 7E0E4507
	v_mul_f32_e32 v100, v100, v4                               // 0000000058C4: 0AC80964
	v_mul_f32_e32 v101, v101, v5                               // 0000000058C8: 0ACA0B65
	v_mul_f32_e32 v102, v102, v6                               // 0000000058CC: 0ACC0D66
	v_mul_f32_e32 v103, v103, v7                               // 0000000058D0: 0ACE0F67
	v_mul_f32_e32 v100, v100, v196                             // 0000000058D4: 0AC98964
	v_mul_f32_e32 v101, v101, v197                             // 0000000058D8: 0ACB8B65
	v_mul_f32_e32 v102, v102, v198                             // 0000000058DC: 0ACD8D66
	v_mul_f32_e32 v103, v103, v199                             // 0000000058E0: 0ACF8F67
	v_pk_mul_f32 v[4:5], v[104:105], v[104:105]                // 0000000058E4: D3B14004 1802D168
	v_pk_mul_f32 v[6:7], v[106:107], v[106:107]                // 0000000058EC: D3B14006 1802D56A
	v_pk_fma_f32 v[4:5], v[4:5], s[78:79], v[8:9]              // 0000000058F4: D3B04004 1C209D04
	v_pk_fma_f32 v[6:7], v[6:7], s[78:79], v[8:9]              // 0000000058FC: D3B04006 1C209D06
	v_pk_mul_f32 v[4:5], v[4:5], v[104:105]                    // 000000005904: D3B14004 1802D104
	v_pk_mul_f32 v[6:7], v[6:7], v[106:107]                    // 00000000590C: D3B14006 1802D506
	v_pk_mul_f32 v[4:5], v[4:5], s[60:61]                      // 000000005914: D3B14004 18007904
	v_pk_mul_f32 v[6:7], v[6:7], s[60:61]                      // 00000000591C: D3B14006 18007906
	v_exp_f32_e32 v4, v4                                       // 000000005924: 7E084104
	v_exp_f32_e32 v5, v5                                       // 000000005928: 7E0A4105
	v_exp_f32_e32 v6, v6                                       // 00000000592C: 7E0C4106
	v_exp_f32_e32 v7, v7                                       // 000000005930: 7E0E4107
	v_add_f32_e64 v4, v4, 1.0                                  // 000000005934: D1010004 0001E504
	v_add_f32_e64 v5, v5, 1.0                                  // 00000000593C: D1010005 0001E505
	v_add_f32_e64 v6, v6, 1.0                                  // 000000005944: D1010006 0001E506
	v_add_f32_e64 v7, v7, 1.0                                  // 00000000594C: D1010007 0001E507
	v_rcp_f32_e32 v4, v4                                       // 000000005954: 7E084504
	v_rcp_f32_e32 v5, v5                                       // 000000005958: 7E0A4505
	v_rcp_f32_e32 v6, v6                                       // 00000000595C: 7E0C4506
	v_rcp_f32_e32 v7, v7                                       // 000000005960: 7E0E4507
	v_mul_f32_e32 v104, v104, v4                               // 000000005964: 0AD00968
	v_mul_f32_e32 v105, v105, v5                               // 000000005968: 0AD20B69
	v_mul_f32_e32 v106, v106, v6                               // 00000000596C: 0AD40D6A
	v_mul_f32_e32 v107, v107, v7                               // 000000005970: 0AD60F6B
	v_mul_f32_e32 v104, v104, v200                             // 000000005974: 0AD19168
	v_mul_f32_e32 v105, v105, v201                             // 000000005978: 0AD39369
	v_mul_f32_e32 v106, v106, v202                             // 00000000597C: 0AD5956A
	v_mul_f32_e32 v107, v107, v203                             // 000000005980: 0AD7976B
	v_pk_mul_f32 v[4:5], v[108:109], v[108:109]                // 000000005984: D3B14004 1802D96C
	v_pk_mul_f32 v[6:7], v[110:111], v[110:111]                // 00000000598C: D3B14006 1802DD6E
	v_pk_fma_f32 v[4:5], v[4:5], s[78:79], v[8:9]              // 000000005994: D3B04004 1C209D04
	v_pk_fma_f32 v[6:7], v[6:7], s[78:79], v[8:9]              // 00000000599C: D3B04006 1C209D06
	v_pk_mul_f32 v[4:5], v[4:5], v[108:109]                    // 0000000059A4: D3B14004 1802D904
	v_pk_mul_f32 v[6:7], v[6:7], v[110:111]                    // 0000000059AC: D3B14006 1802DD06
	v_pk_mul_f32 v[4:5], v[4:5], s[60:61]                      // 0000000059B4: D3B14004 18007904
	v_pk_mul_f32 v[6:7], v[6:7], s[60:61]                      // 0000000059BC: D3B14006 18007906
	v_exp_f32_e32 v4, v4                                       // 0000000059C4: 7E084104
	v_exp_f32_e32 v5, v5                                       // 0000000059C8: 7E0A4105
	v_exp_f32_e32 v6, v6                                       // 0000000059CC: 7E0C4106
	v_exp_f32_e32 v7, v7                                       // 0000000059D0: 7E0E4107
	v_add_f32_e64 v4, v4, 1.0                                  // 0000000059D4: D1010004 0001E504
	v_add_f32_e64 v5, v5, 1.0                                  // 0000000059DC: D1010005 0001E505
	v_add_f32_e64 v6, v6, 1.0                                  // 0000000059E4: D1010006 0001E506
	v_add_f32_e64 v7, v7, 1.0                                  // 0000000059EC: D1010007 0001E507
	v_rcp_f32_e32 v4, v4                                       // 0000000059F4: 7E084504
	v_rcp_f32_e32 v5, v5                                       // 0000000059F8: 7E0A4505
	v_rcp_f32_e32 v6, v6                                       // 0000000059FC: 7E0C4506
	v_rcp_f32_e32 v7, v7                                       // 000000005A00: 7E0E4507
	v_mul_f32_e32 v108, v108, v4                               // 000000005A04: 0AD8096C
	v_mul_f32_e32 v109, v109, v5                               // 000000005A08: 0ADA0B6D
	v_mul_f32_e32 v110, v110, v6                               // 000000005A0C: 0ADC0D6E
	v_mul_f32_e32 v111, v111, v7                               // 000000005A10: 0ADE0F6F
	v_mul_f32_e32 v108, v108, v204                             // 000000005A14: 0AD9996C
	v_mul_f32_e32 v109, v109, v205                             // 000000005A18: 0ADB9B6D
	v_mul_f32_e32 v110, v110, v206                             // 000000005A1C: 0ADD9D6E
	v_mul_f32_e32 v111, v111, v207                             // 000000005A20: 0ADF9F6F
	v_pk_mul_f32 v[4:5], v[112:113], v[112:113]                // 000000005A24: D3B14004 1802E170
	v_pk_mul_f32 v[6:7], v[114:115], v[114:115]                // 000000005A2C: D3B14006 1802E572
	v_pk_fma_f32 v[4:5], v[4:5], s[78:79], v[8:9]              // 000000005A34: D3B04004 1C209D04
	v_pk_fma_f32 v[6:7], v[6:7], s[78:79], v[8:9]              // 000000005A3C: D3B04006 1C209D06
	v_pk_mul_f32 v[4:5], v[4:5], v[112:113]                    // 000000005A44: D3B14004 1802E104
	v_pk_mul_f32 v[6:7], v[6:7], v[114:115]                    // 000000005A4C: D3B14006 1802E506
	v_pk_mul_f32 v[4:5], v[4:5], s[60:61]                      // 000000005A54: D3B14004 18007904
	v_pk_mul_f32 v[6:7], v[6:7], s[60:61]                      // 000000005A5C: D3B14006 18007906
	v_exp_f32_e32 v4, v4                                       // 000000005A64: 7E084104
	v_exp_f32_e32 v5, v5                                       // 000000005A68: 7E0A4105
	v_exp_f32_e32 v6, v6                                       // 000000005A6C: 7E0C4106
	v_exp_f32_e32 v7, v7                                       // 000000005A70: 7E0E4107
	v_add_f32_e64 v4, v4, 1.0                                  // 000000005A74: D1010004 0001E504
	v_add_f32_e64 v5, v5, 1.0                                  // 000000005A7C: D1010005 0001E505
	v_add_f32_e64 v6, v6, 1.0                                  // 000000005A84: D1010006 0001E506
	v_add_f32_e64 v7, v7, 1.0                                  // 000000005A8C: D1010007 0001E507
	v_rcp_f32_e32 v4, v4                                       // 000000005A94: 7E084504
	v_rcp_f32_e32 v5, v5                                       // 000000005A98: 7E0A4505
	v_rcp_f32_e32 v6, v6                                       // 000000005A9C: 7E0C4506
	v_rcp_f32_e32 v7, v7                                       // 000000005AA0: 7E0E4507
	v_mul_f32_e32 v112, v112, v4                               // 000000005AA4: 0AE00970
	v_mul_f32_e32 v113, v113, v5                               // 000000005AA8: 0AE20B71
	v_mul_f32_e32 v114, v114, v6                               // 000000005AAC: 0AE40D72
	v_mul_f32_e32 v115, v115, v7                               // 000000005AB0: 0AE60F73
	v_mul_f32_e32 v112, v112, v208                             // 000000005AB4: 0AE1A170
	v_mul_f32_e32 v113, v113, v209                             // 000000005AB8: 0AE3A371
	v_mul_f32_e32 v114, v114, v210                             // 000000005ABC: 0AE5A572
	v_mul_f32_e32 v115, v115, v211                             // 000000005AC0: 0AE7A773
	v_pk_mul_f32 v[4:5], v[116:117], v[116:117]                // 000000005AC4: D3B14004 1802E974
	v_pk_mul_f32 v[6:7], v[118:119], v[118:119]                // 000000005ACC: D3B14006 1802ED76
	v_pk_fma_f32 v[4:5], v[4:5], s[78:79], v[8:9]              // 000000005AD4: D3B04004 1C209D04
	v_pk_fma_f32 v[6:7], v[6:7], s[78:79], v[8:9]              // 000000005ADC: D3B04006 1C209D06
	v_pk_mul_f32 v[4:5], v[4:5], v[116:117]                    // 000000005AE4: D3B14004 1802E904
	v_pk_mul_f32 v[6:7], v[6:7], v[118:119]                    // 000000005AEC: D3B14006 1802ED06
	v_pk_mul_f32 v[4:5], v[4:5], s[60:61]                      // 000000005AF4: D3B14004 18007904
	v_pk_mul_f32 v[6:7], v[6:7], s[60:61]                      // 000000005AFC: D3B14006 18007906
	v_exp_f32_e32 v4, v4                                       // 000000005B04: 7E084104
	v_exp_f32_e32 v5, v5                                       // 000000005B08: 7E0A4105
	v_exp_f32_e32 v6, v6                                       // 000000005B0C: 7E0C4106
	v_exp_f32_e32 v7, v7                                       // 000000005B10: 7E0E4107
	v_add_f32_e64 v4, v4, 1.0                                  // 000000005B14: D1010004 0001E504
	v_add_f32_e64 v5, v5, 1.0                                  // 000000005B1C: D1010005 0001E505
	v_add_f32_e64 v6, v6, 1.0                                  // 000000005B24: D1010006 0001E506
	v_add_f32_e64 v7, v7, 1.0                                  // 000000005B2C: D1010007 0001E507
	v_rcp_f32_e32 v4, v4                                       // 000000005B34: 7E084504
	v_rcp_f32_e32 v5, v5                                       // 000000005B38: 7E0A4505
	v_rcp_f32_e32 v6, v6                                       // 000000005B3C: 7E0C4506
	v_rcp_f32_e32 v7, v7                                       // 000000005B40: 7E0E4507
	v_mul_f32_e32 v116, v116, v4                               // 000000005B44: 0AE80974
	v_mul_f32_e32 v117, v117, v5                               // 000000005B48: 0AEA0B75
	v_mul_f32_e32 v118, v118, v6                               // 000000005B4C: 0AEC0D76
	v_mul_f32_e32 v119, v119, v7                               // 000000005B50: 0AEE0F77
	v_mul_f32_e32 v116, v116, v212                             // 000000005B54: 0AE9A974
	v_mul_f32_e32 v117, v117, v213                             // 000000005B58: 0AEBAB75
	v_mul_f32_e32 v118, v118, v214                             // 000000005B5C: 0AEDAD76
	v_mul_f32_e32 v119, v119, v215                             // 000000005B60: 0AEFAF77
	v_pk_mul_f32 v[4:5], v[120:121], v[120:121]                // 000000005B64: D3B14004 1802F178
	v_pk_mul_f32 v[6:7], v[122:123], v[122:123]                // 000000005B6C: D3B14006 1802F57A
	v_pk_fma_f32 v[4:5], v[4:5], s[78:79], v[8:9]              // 000000005B74: D3B04004 1C209D04
	v_pk_fma_f32 v[6:7], v[6:7], s[78:79], v[8:9]              // 000000005B7C: D3B04006 1C209D06
	v_pk_mul_f32 v[4:5], v[4:5], v[120:121]                    // 000000005B84: D3B14004 1802F104
	v_pk_mul_f32 v[6:7], v[6:7], v[122:123]                    // 000000005B8C: D3B14006 1802F506
	v_pk_mul_f32 v[4:5], v[4:5], s[60:61]                      // 000000005B94: D3B14004 18007904
	v_pk_mul_f32 v[6:7], v[6:7], s[60:61]                      // 000000005B9C: D3B14006 18007906
	v_exp_f32_e32 v4, v4                                       // 000000005BA4: 7E084104
	v_exp_f32_e32 v5, v5                                       // 000000005BA8: 7E0A4105
	v_exp_f32_e32 v6, v6                                       // 000000005BAC: 7E0C4106
	v_exp_f32_e32 v7, v7                                       // 000000005BB0: 7E0E4107
	v_add_f32_e64 v4, v4, 1.0                                  // 000000005BB4: D1010004 0001E504
	v_add_f32_e64 v5, v5, 1.0                                  // 000000005BBC: D1010005 0001E505
	v_add_f32_e64 v6, v6, 1.0                                  // 000000005BC4: D1010006 0001E506
	v_add_f32_e64 v7, v7, 1.0                                  // 000000005BCC: D1010007 0001E507
	v_rcp_f32_e32 v4, v4                                       // 000000005BD4: 7E084504
	v_rcp_f32_e32 v5, v5                                       // 000000005BD8: 7E0A4505
	v_rcp_f32_e32 v6, v6                                       // 000000005BDC: 7E0C4506
	v_rcp_f32_e32 v7, v7                                       // 000000005BE0: 7E0E4507
	v_mul_f32_e32 v120, v120, v4                               // 000000005BE4: 0AF00978
	v_mul_f32_e32 v121, v121, v5                               // 000000005BE8: 0AF20B79
	v_mul_f32_e32 v122, v122, v6                               // 000000005BEC: 0AF40D7A
	v_mul_f32_e32 v123, v123, v7                               // 000000005BF0: 0AF60F7B
	v_mul_f32_e32 v120, v120, v216                             // 000000005BF4: 0AF1B178
	v_mul_f32_e32 v121, v121, v217                             // 000000005BF8: 0AF3B379
	v_mul_f32_e32 v122, v122, v218                             // 000000005BFC: 0AF5B57A
	v_mul_f32_e32 v123, v123, v219                             // 000000005C00: 0AF7B77B
	v_pk_mul_f32 v[4:5], v[124:125], v[124:125]                // 000000005C04: D3B14004 1802F97C
	v_pk_mul_f32 v[6:7], v[126:127], v[126:127]                // 000000005C0C: D3B14006 1802FD7E
	v_pk_fma_f32 v[4:5], v[4:5], s[78:79], v[8:9]              // 000000005C14: D3B04004 1C209D04
	v_pk_fma_f32 v[6:7], v[6:7], s[78:79], v[8:9]              // 000000005C1C: D3B04006 1C209D06
	v_pk_mul_f32 v[4:5], v[4:5], v[124:125]                    // 000000005C24: D3B14004 1802F904
	v_pk_mul_f32 v[6:7], v[6:7], v[126:127]                    // 000000005C2C: D3B14006 1802FD06
	v_pk_mul_f32 v[4:5], v[4:5], s[60:61]                      // 000000005C34: D3B14004 18007904
	v_pk_mul_f32 v[6:7], v[6:7], s[60:61]                      // 000000005C3C: D3B14006 18007906
	v_exp_f32_e32 v4, v4                                       // 000000005C44: 7E084104
	v_exp_f32_e32 v5, v5                                       // 000000005C48: 7E0A4105
	v_exp_f32_e32 v6, v6                                       // 000000005C4C: 7E0C4106
	v_exp_f32_e32 v7, v7                                       // 000000005C50: 7E0E4107
	v_add_f32_e64 v4, v4, 1.0                                  // 000000005C54: D1010004 0001E504
	v_add_f32_e64 v5, v5, 1.0                                  // 000000005C5C: D1010005 0001E505
	v_add_f32_e64 v6, v6, 1.0                                  // 000000005C64: D1010006 0001E506
	v_add_f32_e64 v7, v7, 1.0                                  // 000000005C6C: D1010007 0001E507
	v_rcp_f32_e32 v4, v4                                       // 000000005C74: 7E084504
	v_rcp_f32_e32 v5, v5                                       // 000000005C78: 7E0A4505
	v_rcp_f32_e32 v6, v6                                       // 000000005C7C: 7E0C4506
	v_rcp_f32_e32 v7, v7                                       // 000000005C80: 7E0E4507
	v_mul_f32_e32 v124, v124, v4                               // 000000005C84: 0AF8097C
	v_mul_f32_e32 v125, v125, v5                               // 000000005C88: 0AFA0B7D
	v_mul_f32_e32 v126, v126, v6                               // 000000005C8C: 0AFC0D7E
	v_mul_f32_e32 v127, v127, v7                               // 000000005C90: 0AFE0F7F
	v_mul_f32_e32 v124, v124, v220                             // 000000005C94: 0AF9B97C
	v_mul_f32_e32 v125, v125, v221                             // 000000005C98: 0AFBBB7D
	v_mul_f32_e32 v126, v126, v222                             // 000000005C9C: 0AFDBD7E
	v_mul_f32_e32 v127, v127, v223                             // 000000005CA0: 0AFFBF7F
	v_pk_mul_f32 v[4:5], v[128:129], v[128:129]                // 000000005CA4: D3B14004 18030180
	v_pk_mul_f32 v[6:7], v[130:131], v[130:131]                // 000000005CAC: D3B14006 18030582
	v_pk_fma_f32 v[4:5], v[4:5], s[78:79], v[8:9]              // 000000005CB4: D3B04004 1C209D04
	v_pk_fma_f32 v[6:7], v[6:7], s[78:79], v[8:9]              // 000000005CBC: D3B04006 1C209D06
	v_pk_mul_f32 v[4:5], v[4:5], v[128:129]                    // 000000005CC4: D3B14004 18030104
	v_pk_mul_f32 v[6:7], v[6:7], v[130:131]                    // 000000005CCC: D3B14006 18030506
	v_pk_mul_f32 v[4:5], v[4:5], s[60:61]                      // 000000005CD4: D3B14004 18007904
	v_pk_mul_f32 v[6:7], v[6:7], s[60:61]                      // 000000005CDC: D3B14006 18007906
	v_exp_f32_e32 v4, v4                                       // 000000005CE4: 7E084104
	v_exp_f32_e32 v5, v5                                       // 000000005CE8: 7E0A4105
	v_exp_f32_e32 v6, v6                                       // 000000005CEC: 7E0C4106
	v_exp_f32_e32 v7, v7                                       // 000000005CF0: 7E0E4107
	v_add_f32_e64 v4, v4, 1.0                                  // 000000005CF4: D1010004 0001E504
	v_add_f32_e64 v5, v5, 1.0                                  // 000000005CFC: D1010005 0001E505
	v_add_f32_e64 v6, v6, 1.0                                  // 000000005D04: D1010006 0001E506
	v_add_f32_e64 v7, v7, 1.0                                  // 000000005D0C: D1010007 0001E507
	v_rcp_f32_e32 v4, v4                                       // 000000005D14: 7E084504
	v_rcp_f32_e32 v5, v5                                       // 000000005D18: 7E0A4505
	v_rcp_f32_e32 v6, v6                                       // 000000005D1C: 7E0C4506
	v_rcp_f32_e32 v7, v7                                       // 000000005D20: 7E0E4507
	v_mul_f32_e32 v128, v128, v4                               // 000000005D24: 0B000980
	v_mul_f32_e32 v129, v129, v5                               // 000000005D28: 0B020B81
	v_mul_f32_e32 v130, v130, v6                               // 000000005D2C: 0B040D82
	v_mul_f32_e32 v131, v131, v7                               // 000000005D30: 0B060F83
	v_mul_f32_e32 v128, v128, v224                             // 000000005D34: 0B01C180
	v_mul_f32_e32 v129, v129, v225                             // 000000005D38: 0B03C381
	v_mul_f32_e32 v130, v130, v226                             // 000000005D3C: 0B05C582
	v_mul_f32_e32 v131, v131, v227                             // 000000005D40: 0B07C783
	v_pk_mul_f32 v[4:5], v[132:133], v[132:133]                // 000000005D44: D3B14004 18030984
	v_pk_mul_f32 v[6:7], v[134:135], v[134:135]                // 000000005D4C: D3B14006 18030D86
	v_pk_fma_f32 v[4:5], v[4:5], s[78:79], v[8:9]              // 000000005D54: D3B04004 1C209D04
	v_pk_fma_f32 v[6:7], v[6:7], s[78:79], v[8:9]              // 000000005D5C: D3B04006 1C209D06
	v_pk_mul_f32 v[4:5], v[4:5], v[132:133]                    // 000000005D64: D3B14004 18030904
	v_pk_mul_f32 v[6:7], v[6:7], v[134:135]                    // 000000005D6C: D3B14006 18030D06
	v_pk_mul_f32 v[4:5], v[4:5], s[60:61]                      // 000000005D74: D3B14004 18007904
	v_pk_mul_f32 v[6:7], v[6:7], s[60:61]                      // 000000005D7C: D3B14006 18007906
	v_exp_f32_e32 v4, v4                                       // 000000005D84: 7E084104
	v_exp_f32_e32 v5, v5                                       // 000000005D88: 7E0A4105
	v_exp_f32_e32 v6, v6                                       // 000000005D8C: 7E0C4106
	v_exp_f32_e32 v7, v7                                       // 000000005D90: 7E0E4107
	v_add_f32_e64 v4, v4, 1.0                                  // 000000005D94: D1010004 0001E504
	v_add_f32_e64 v5, v5, 1.0                                  // 000000005D9C: D1010005 0001E505
	v_add_f32_e64 v6, v6, 1.0                                  // 000000005DA4: D1010006 0001E506
	v_add_f32_e64 v7, v7, 1.0                                  // 000000005DAC: D1010007 0001E507
	v_rcp_f32_e32 v4, v4                                       // 000000005DB4: 7E084504
	v_rcp_f32_e32 v5, v5                                       // 000000005DB8: 7E0A4505
	v_rcp_f32_e32 v6, v6                                       // 000000005DBC: 7E0C4506
	v_rcp_f32_e32 v7, v7                                       // 000000005DC0: 7E0E4507
	v_mul_f32_e32 v132, v132, v4                               // 000000005DC4: 0B080984
	v_mul_f32_e32 v133, v133, v5                               // 000000005DC8: 0B0A0B85
	v_mul_f32_e32 v134, v134, v6                               // 000000005DCC: 0B0C0D86
	v_mul_f32_e32 v135, v135, v7                               // 000000005DD0: 0B0E0F87
	v_mul_f32_e32 v132, v132, v228                             // 000000005DD4: 0B09C984
	v_mul_f32_e32 v133, v133, v229                             // 000000005DD8: 0B0BCB85
	v_mul_f32_e32 v134, v134, v230                             // 000000005DDC: 0B0DCD86
	v_mul_f32_e32 v135, v135, v231                             // 000000005DE0: 0B0FCF87
	v_pk_mul_f32 v[4:5], v[136:137], v[136:137]                // 000000005DE4: D3B14004 18031188
	v_pk_mul_f32 v[6:7], v[138:139], v[138:139]                // 000000005DEC: D3B14006 1803158A
	v_pk_fma_f32 v[4:5], v[4:5], s[78:79], v[8:9]              // 000000005DF4: D3B04004 1C209D04
	v_pk_fma_f32 v[6:7], v[6:7], s[78:79], v[8:9]              // 000000005DFC: D3B04006 1C209D06
	v_pk_mul_f32 v[4:5], v[4:5], v[136:137]                    // 000000005E04: D3B14004 18031104
	v_pk_mul_f32 v[6:7], v[6:7], v[138:139]                    // 000000005E0C: D3B14006 18031506
	v_pk_mul_f32 v[4:5], v[4:5], s[60:61]                      // 000000005E14: D3B14004 18007904
	v_pk_mul_f32 v[6:7], v[6:7], s[60:61]                      // 000000005E1C: D3B14006 18007906
	v_exp_f32_e32 v4, v4                                       // 000000005E24: 7E084104
	v_exp_f32_e32 v5, v5                                       // 000000005E28: 7E0A4105
	v_exp_f32_e32 v6, v6                                       // 000000005E2C: 7E0C4106
	v_exp_f32_e32 v7, v7                                       // 000000005E30: 7E0E4107
	v_add_f32_e64 v4, v4, 1.0                                  // 000000005E34: D1010004 0001E504
	v_add_f32_e64 v5, v5, 1.0                                  // 000000005E3C: D1010005 0001E505
	v_add_f32_e64 v6, v6, 1.0                                  // 000000005E44: D1010006 0001E506
	v_add_f32_e64 v7, v7, 1.0                                  // 000000005E4C: D1010007 0001E507
	v_rcp_f32_e32 v4, v4                                       // 000000005E54: 7E084504
	v_rcp_f32_e32 v5, v5                                       // 000000005E58: 7E0A4505
	v_rcp_f32_e32 v6, v6                                       // 000000005E5C: 7E0C4506
	v_rcp_f32_e32 v7, v7                                       // 000000005E60: 7E0E4507
	v_mul_f32_e32 v136, v136, v4                               // 000000005E64: 0B100988
	v_mul_f32_e32 v137, v137, v5                               // 000000005E68: 0B120B89
	v_mul_f32_e32 v138, v138, v6                               // 000000005E6C: 0B140D8A
	v_mul_f32_e32 v139, v139, v7                               // 000000005E70: 0B160F8B
	v_mul_f32_e32 v136, v136, v232                             // 000000005E74: 0B11D188
	v_mul_f32_e32 v137, v137, v233                             // 000000005E78: 0B13D389
	v_mul_f32_e32 v138, v138, v234                             // 000000005E7C: 0B15D58A
	v_mul_f32_e32 v139, v139, v235                             // 000000005E80: 0B17D78B
	v_pk_mul_f32 v[4:5], v[140:141], v[140:141]                // 000000005E84: D3B14004 1803198C
	v_pk_mul_f32 v[6:7], v[142:143], v[142:143]                // 000000005E8C: D3B14006 18031D8E
	v_pk_fma_f32 v[4:5], v[4:5], s[78:79], v[8:9]              // 000000005E94: D3B04004 1C209D04
	v_pk_fma_f32 v[6:7], v[6:7], s[78:79], v[8:9]              // 000000005E9C: D3B04006 1C209D06
	v_pk_mul_f32 v[4:5], v[4:5], v[140:141]                    // 000000005EA4: D3B14004 18031904
	v_pk_mul_f32 v[6:7], v[6:7], v[142:143]                    // 000000005EAC: D3B14006 18031D06
	v_pk_mul_f32 v[4:5], v[4:5], s[60:61]                      // 000000005EB4: D3B14004 18007904
	v_pk_mul_f32 v[6:7], v[6:7], s[60:61]                      // 000000005EBC: D3B14006 18007906
	v_exp_f32_e32 v4, v4                                       // 000000005EC4: 7E084104
	v_exp_f32_e32 v5, v5                                       // 000000005EC8: 7E0A4105
	v_exp_f32_e32 v6, v6                                       // 000000005ECC: 7E0C4106
	v_exp_f32_e32 v7, v7                                       // 000000005ED0: 7E0E4107
	v_add_f32_e64 v4, v4, 1.0                                  // 000000005ED4: D1010004 0001E504
	v_add_f32_e64 v5, v5, 1.0                                  // 000000005EDC: D1010005 0001E505
	v_add_f32_e64 v6, v6, 1.0                                  // 000000005EE4: D1010006 0001E506
	v_add_f32_e64 v7, v7, 1.0                                  // 000000005EEC: D1010007 0001E507
	v_rcp_f32_e32 v4, v4                                       // 000000005EF4: 7E084504
	v_rcp_f32_e32 v5, v5                                       // 000000005EF8: 7E0A4505
	v_rcp_f32_e32 v6, v6                                       // 000000005EFC: 7E0C4506
	v_rcp_f32_e32 v7, v7                                       // 000000005F00: 7E0E4507
	v_mul_f32_e32 v140, v140, v4                               // 000000005F04: 0B18098C
	v_mul_f32_e32 v141, v141, v5                               // 000000005F08: 0B1A0B8D
	v_mul_f32_e32 v142, v142, v6                               // 000000005F0C: 0B1C0D8E
	v_mul_f32_e32 v143, v143, v7                               // 000000005F10: 0B1E0F8F
	v_mul_f32_e32 v140, v140, v236                             // 000000005F14: 0B19D98C
	v_mul_f32_e32 v141, v141, v237                             // 000000005F18: 0B1BDB8D
	v_mul_f32_e32 v142, v142, v238                             // 000000005F1C: 0B1DDD8E
	v_mul_f32_e32 v143, v143, v239                             // 000000005F20: 0B1FDF8F
	v_pk_mul_f32 v[4:5], v[144:145], v[144:145]                // 000000005F24: D3B14004 18032190
	v_pk_mul_f32 v[6:7], v[146:147], v[146:147]                // 000000005F2C: D3B14006 18032592
	v_pk_fma_f32 v[4:5], v[4:5], s[78:79], v[8:9]              // 000000005F34: D3B04004 1C209D04
	v_pk_fma_f32 v[6:7], v[6:7], s[78:79], v[8:9]              // 000000005F3C: D3B04006 1C209D06
	v_pk_mul_f32 v[4:5], v[4:5], v[144:145]                    // 000000005F44: D3B14004 18032104
	v_pk_mul_f32 v[6:7], v[6:7], v[146:147]                    // 000000005F4C: D3B14006 18032506
	v_pk_mul_f32 v[4:5], v[4:5], s[60:61]                      // 000000005F54: D3B14004 18007904
	v_pk_mul_f32 v[6:7], v[6:7], s[60:61]                      // 000000005F5C: D3B14006 18007906
	v_exp_f32_e32 v4, v4                                       // 000000005F64: 7E084104
	v_exp_f32_e32 v5, v5                                       // 000000005F68: 7E0A4105
	v_exp_f32_e32 v6, v6                                       // 000000005F6C: 7E0C4106
	v_exp_f32_e32 v7, v7                                       // 000000005F70: 7E0E4107
	v_add_f32_e64 v4, v4, 1.0                                  // 000000005F74: D1010004 0001E504
	v_add_f32_e64 v5, v5, 1.0                                  // 000000005F7C: D1010005 0001E505
	v_add_f32_e64 v6, v6, 1.0                                  // 000000005F84: D1010006 0001E506
	v_add_f32_e64 v7, v7, 1.0                                  // 000000005F8C: D1010007 0001E507
	v_rcp_f32_e32 v4, v4                                       // 000000005F94: 7E084504
	v_rcp_f32_e32 v5, v5                                       // 000000005F98: 7E0A4505
	v_rcp_f32_e32 v6, v6                                       // 000000005F9C: 7E0C4506
	v_rcp_f32_e32 v7, v7                                       // 000000005FA0: 7E0E4507
	v_mul_f32_e32 v144, v144, v4                               // 000000005FA4: 0B200990
	v_mul_f32_e32 v145, v145, v5                               // 000000005FA8: 0B220B91
	v_mul_f32_e32 v146, v146, v6                               // 000000005FAC: 0B240D92
	v_mul_f32_e32 v147, v147, v7                               // 000000005FB0: 0B260F93
	v_mul_f32_e32 v144, v144, v240                             // 000000005FB4: 0B21E190
	v_mul_f32_e32 v145, v145, v241                             // 000000005FB8: 0B23E391
	v_mul_f32_e32 v146, v146, v242                             // 000000005FBC: 0B25E592
	v_mul_f32_e32 v147, v147, v243                             // 000000005FC0: 0B27E793
	v_pk_mul_f32 v[4:5], v[148:149], v[148:149]                // 000000005FC4: D3B14004 18032994
	v_pk_mul_f32 v[6:7], v[150:151], v[150:151]                // 000000005FCC: D3B14006 18032D96
	v_pk_fma_f32 v[4:5], v[4:5], s[78:79], v[8:9]              // 000000005FD4: D3B04004 1C209D04
	v_pk_fma_f32 v[6:7], v[6:7], s[78:79], v[8:9]              // 000000005FDC: D3B04006 1C209D06
	v_pk_mul_f32 v[4:5], v[4:5], v[148:149]                    // 000000005FE4: D3B14004 18032904
	v_pk_mul_f32 v[6:7], v[6:7], v[150:151]                    // 000000005FEC: D3B14006 18032D06
	v_pk_mul_f32 v[4:5], v[4:5], s[60:61]                      // 000000005FF4: D3B14004 18007904
	v_pk_mul_f32 v[6:7], v[6:7], s[60:61]                      // 000000005FFC: D3B14006 18007906
	v_exp_f32_e32 v4, v4                                       // 000000006004: 7E084104
	v_exp_f32_e32 v5, v5                                       // 000000006008: 7E0A4105
	v_exp_f32_e32 v6, v6                                       // 00000000600C: 7E0C4106
	v_exp_f32_e32 v7, v7                                       // 000000006010: 7E0E4107
	v_add_f32_e64 v4, v4, 1.0                                  // 000000006014: D1010004 0001E504
	v_add_f32_e64 v5, v5, 1.0                                  // 00000000601C: D1010005 0001E505
	v_add_f32_e64 v6, v6, 1.0                                  // 000000006024: D1010006 0001E506
	v_add_f32_e64 v7, v7, 1.0                                  // 00000000602C: D1010007 0001E507
	v_rcp_f32_e32 v4, v4                                       // 000000006034: 7E084504
	v_rcp_f32_e32 v5, v5                                       // 000000006038: 7E0A4505
	v_rcp_f32_e32 v6, v6                                       // 00000000603C: 7E0C4506
	v_rcp_f32_e32 v7, v7                                       // 000000006040: 7E0E4507
	v_mul_f32_e32 v148, v148, v4                               // 000000006044: 0B280994
	v_mul_f32_e32 v149, v149, v5                               // 000000006048: 0B2A0B95
	v_mul_f32_e32 v150, v150, v6                               // 00000000604C: 0B2C0D96
	v_mul_f32_e32 v151, v151, v7                               // 000000006050: 0B2E0F97
	v_mul_f32_e32 v148, v148, v244                             // 000000006054: 0B29E994
	v_mul_f32_e32 v149, v149, v245                             // 000000006058: 0B2BEB95
	v_mul_f32_e32 v150, v150, v246                             // 00000000605C: 0B2DED96
	v_mul_f32_e32 v151, v151, v247                             // 000000006060: 0B2FEF97
	s_branch label_109A                                        // 000000006064: BF820300

0000000000006068 <label_0D9A>:
	v_mul_f32_e64 v4, -v56, s6                                 // 000000006068: D1050004 20000D38
	v_mul_f32_e64 v5, -v57, s6                                 // 000000006070: D1050005 20000D39
	v_mul_f32_e64 v6, -v58, s6                                 // 000000006078: D1050006 20000D3A
	v_mul_f32_e64 v7, -v59, s6                                 // 000000006080: D1050007 20000D3B
	v_exp_f32_e32 v4, v4                                       // 000000006088: 7E084104
	v_exp_f32_e32 v5, v5                                       // 00000000608C: 7E0A4105
	v_exp_f32_e32 v6, v6                                       // 000000006090: 7E0C4106
	v_exp_f32_e32 v7, v7                                       // 000000006094: 7E0E4107
	v_add_f32_e64 v4, v4, 1.0                                  // 000000006098: D1010004 0001E504
	v_add_f32_e64 v5, v5, 1.0                                  // 0000000060A0: D1010005 0001E505
	v_add_f32_e64 v6, v6, 1.0                                  // 0000000060A8: D1010006 0001E506
	v_add_f32_e64 v7, v7, 1.0                                  // 0000000060B0: D1010007 0001E507
	v_rcp_f32_e32 v4, v4                                       // 0000000060B8: 7E084504
	v_rcp_f32_e32 v5, v5                                       // 0000000060BC: 7E0A4505
	v_rcp_f32_e32 v6, v6                                       // 0000000060C0: 7E0C4506
	v_rcp_f32_e32 v7, v7                                       // 0000000060C4: 7E0E4507
	v_mul_f32_e32 v56, v56, v4                                 // 0000000060C8: 0A700938
	v_mul_f32_e32 v57, v57, v5                                 // 0000000060CC: 0A720B39
	v_mul_f32_e32 v58, v58, v6                                 // 0000000060D0: 0A740D3A
	v_mul_f32_e32 v59, v59, v7                                 // 0000000060D4: 0A760F3B
	v_mul_f32_e32 v56, v56, v152                               // 0000000060D8: 0A713138
	v_mul_f32_e32 v57, v57, v153                               // 0000000060DC: 0A733339
	v_mul_f32_e32 v58, v58, v154                               // 0000000060E0: 0A75353A
	v_mul_f32_e32 v59, v59, v155                               // 0000000060E4: 0A77373B
	v_mul_f32_e64 v4, -v60, s6                                 // 0000000060E8: D1050004 20000D3C
	v_mul_f32_e64 v5, -v61, s6                                 // 0000000060F0: D1050005 20000D3D
	v_mul_f32_e64 v6, -v62, s6                                 // 0000000060F8: D1050006 20000D3E
	v_mul_f32_e64 v7, -v63, s6                                 // 000000006100: D1050007 20000D3F
	v_exp_f32_e32 v4, v4                                       // 000000006108: 7E084104
	v_exp_f32_e32 v5, v5                                       // 00000000610C: 7E0A4105
	v_exp_f32_e32 v6, v6                                       // 000000006110: 7E0C4106
	v_exp_f32_e32 v7, v7                                       // 000000006114: 7E0E4107
	v_add_f32_e64 v4, v4, 1.0                                  // 000000006118: D1010004 0001E504
	v_add_f32_e64 v5, v5, 1.0                                  // 000000006120: D1010005 0001E505
	v_add_f32_e64 v6, v6, 1.0                                  // 000000006128: D1010006 0001E506
	v_add_f32_e64 v7, v7, 1.0                                  // 000000006130: D1010007 0001E507
	v_rcp_f32_e32 v4, v4                                       // 000000006138: 7E084504
	v_rcp_f32_e32 v5, v5                                       // 00000000613C: 7E0A4505
	v_rcp_f32_e32 v6, v6                                       // 000000006140: 7E0C4506
	v_rcp_f32_e32 v7, v7                                       // 000000006144: 7E0E4507
	v_mul_f32_e32 v60, v60, v4                                 // 000000006148: 0A78093C
	v_mul_f32_e32 v61, v61, v5                                 // 00000000614C: 0A7A0B3D
	v_mul_f32_e32 v62, v62, v6                                 // 000000006150: 0A7C0D3E
	v_mul_f32_e32 v63, v63, v7                                 // 000000006154: 0A7E0F3F
	v_mul_f32_e32 v60, v60, v156                               // 000000006158: 0A79393C
	v_mul_f32_e32 v61, v61, v157                               // 00000000615C: 0A7B3B3D
	v_mul_f32_e32 v62, v62, v158                               // 000000006160: 0A7D3D3E
	v_mul_f32_e32 v63, v63, v159                               // 000000006164: 0A7F3F3F
	v_mul_f32_e64 v4, -v64, s6                                 // 000000006168: D1050004 20000D40
	v_mul_f32_e64 v5, -v65, s6                                 // 000000006170: D1050005 20000D41
	v_mul_f32_e64 v6, -v66, s6                                 // 000000006178: D1050006 20000D42
	v_mul_f32_e64 v7, -v67, s6                                 // 000000006180: D1050007 20000D43
	v_exp_f32_e32 v4, v4                                       // 000000006188: 7E084104
	v_exp_f32_e32 v5, v5                                       // 00000000618C: 7E0A4105
	v_exp_f32_e32 v6, v6                                       // 000000006190: 7E0C4106
	v_exp_f32_e32 v7, v7                                       // 000000006194: 7E0E4107
	v_add_f32_e64 v4, v4, 1.0                                  // 000000006198: D1010004 0001E504
	v_add_f32_e64 v5, v5, 1.0                                  // 0000000061A0: D1010005 0001E505
	v_add_f32_e64 v6, v6, 1.0                                  // 0000000061A8: D1010006 0001E506
	v_add_f32_e64 v7, v7, 1.0                                  // 0000000061B0: D1010007 0001E507
	v_rcp_f32_e32 v4, v4                                       // 0000000061B8: 7E084504
	v_rcp_f32_e32 v5, v5                                       // 0000000061BC: 7E0A4505
	v_rcp_f32_e32 v6, v6                                       // 0000000061C0: 7E0C4506
	v_rcp_f32_e32 v7, v7                                       // 0000000061C4: 7E0E4507
	v_mul_f32_e32 v64, v64, v4                                 // 0000000061C8: 0A800940
	v_mul_f32_e32 v65, v65, v5                                 // 0000000061CC: 0A820B41
	v_mul_f32_e32 v66, v66, v6                                 // 0000000061D0: 0A840D42
	v_mul_f32_e32 v67, v67, v7                                 // 0000000061D4: 0A860F43
	v_mul_f32_e32 v64, v64, v160                               // 0000000061D8: 0A814140
	v_mul_f32_e32 v65, v65, v161                               // 0000000061DC: 0A834341
	v_mul_f32_e32 v66, v66, v162                               // 0000000061E0: 0A854542
	v_mul_f32_e32 v67, v67, v163                               // 0000000061E4: 0A874743
	v_mul_f32_e64 v4, -v68, s6                                 // 0000000061E8: D1050004 20000D44
	v_mul_f32_e64 v5, -v69, s6                                 // 0000000061F0: D1050005 20000D45
	v_mul_f32_e64 v6, -v70, s6                                 // 0000000061F8: D1050006 20000D46
	v_mul_f32_e64 v7, -v71, s6                                 // 000000006200: D1050007 20000D47
	v_exp_f32_e32 v4, v4                                       // 000000006208: 7E084104
	v_exp_f32_e32 v5, v5                                       // 00000000620C: 7E0A4105
	v_exp_f32_e32 v6, v6                                       // 000000006210: 7E0C4106
	v_exp_f32_e32 v7, v7                                       // 000000006214: 7E0E4107
	v_add_f32_e64 v4, v4, 1.0                                  // 000000006218: D1010004 0001E504
	v_add_f32_e64 v5, v5, 1.0                                  // 000000006220: D1010005 0001E505
	v_add_f32_e64 v6, v6, 1.0                                  // 000000006228: D1010006 0001E506
	v_add_f32_e64 v7, v7, 1.0                                  // 000000006230: D1010007 0001E507
	v_rcp_f32_e32 v4, v4                                       // 000000006238: 7E084504
	v_rcp_f32_e32 v5, v5                                       // 00000000623C: 7E0A4505
	v_rcp_f32_e32 v6, v6                                       // 000000006240: 7E0C4506
	v_rcp_f32_e32 v7, v7                                       // 000000006244: 7E0E4507
	v_mul_f32_e32 v68, v68, v4                                 // 000000006248: 0A880944
	v_mul_f32_e32 v69, v69, v5                                 // 00000000624C: 0A8A0B45
	v_mul_f32_e32 v70, v70, v6                                 // 000000006250: 0A8C0D46
	v_mul_f32_e32 v71, v71, v7                                 // 000000006254: 0A8E0F47
	v_mul_f32_e32 v68, v68, v164                               // 000000006258: 0A894944
	v_mul_f32_e32 v69, v69, v165                               // 00000000625C: 0A8B4B45
	v_mul_f32_e32 v70, v70, v166                               // 000000006260: 0A8D4D46
	v_mul_f32_e32 v71, v71, v167                               // 000000006264: 0A8F4F47
	v_mul_f32_e64 v4, -v72, s6                                 // 000000006268: D1050004 20000D48
	v_mul_f32_e64 v5, -v73, s6                                 // 000000006270: D1050005 20000D49
	v_mul_f32_e64 v6, -v74, s6                                 // 000000006278: D1050006 20000D4A
	v_mul_f32_e64 v7, -v75, s6                                 // 000000006280: D1050007 20000D4B
	v_exp_f32_e32 v4, v4                                       // 000000006288: 7E084104
	v_exp_f32_e32 v5, v5                                       // 00000000628C: 7E0A4105
	v_exp_f32_e32 v6, v6                                       // 000000006290: 7E0C4106
	v_exp_f32_e32 v7, v7                                       // 000000006294: 7E0E4107
	v_add_f32_e64 v4, v4, 1.0                                  // 000000006298: D1010004 0001E504
	v_add_f32_e64 v5, v5, 1.0                                  // 0000000062A0: D1010005 0001E505
	v_add_f32_e64 v6, v6, 1.0                                  // 0000000062A8: D1010006 0001E506
	v_add_f32_e64 v7, v7, 1.0                                  // 0000000062B0: D1010007 0001E507
	v_rcp_f32_e32 v4, v4                                       // 0000000062B8: 7E084504
	v_rcp_f32_e32 v5, v5                                       // 0000000062BC: 7E0A4505
	v_rcp_f32_e32 v6, v6                                       // 0000000062C0: 7E0C4506
	v_rcp_f32_e32 v7, v7                                       // 0000000062C4: 7E0E4507
	v_mul_f32_e32 v72, v72, v4                                 // 0000000062C8: 0A900948
	v_mul_f32_e32 v73, v73, v5                                 // 0000000062CC: 0A920B49
	v_mul_f32_e32 v74, v74, v6                                 // 0000000062D0: 0A940D4A
	v_mul_f32_e32 v75, v75, v7                                 // 0000000062D4: 0A960F4B
	v_mul_f32_e32 v72, v72, v168                               // 0000000062D8: 0A915148
	v_mul_f32_e32 v73, v73, v169                               // 0000000062DC: 0A935349
	v_mul_f32_e32 v74, v74, v170                               // 0000000062E0: 0A95554A
	v_mul_f32_e32 v75, v75, v171                               // 0000000062E4: 0A97574B
	v_mul_f32_e64 v4, -v76, s6                                 // 0000000062E8: D1050004 20000D4C
	v_mul_f32_e64 v5, -v77, s6                                 // 0000000062F0: D1050005 20000D4D
	v_mul_f32_e64 v6, -v78, s6                                 // 0000000062F8: D1050006 20000D4E
	v_mul_f32_e64 v7, -v79, s6                                 // 000000006300: D1050007 20000D4F
	v_exp_f32_e32 v4, v4                                       // 000000006308: 7E084104
	v_exp_f32_e32 v5, v5                                       // 00000000630C: 7E0A4105
	v_exp_f32_e32 v6, v6                                       // 000000006310: 7E0C4106
	v_exp_f32_e32 v7, v7                                       // 000000006314: 7E0E4107
	v_add_f32_e64 v4, v4, 1.0                                  // 000000006318: D1010004 0001E504
	v_add_f32_e64 v5, v5, 1.0                                  // 000000006320: D1010005 0001E505
	v_add_f32_e64 v6, v6, 1.0                                  // 000000006328: D1010006 0001E506
	v_add_f32_e64 v7, v7, 1.0                                  // 000000006330: D1010007 0001E507
	v_rcp_f32_e32 v4, v4                                       // 000000006338: 7E084504
	v_rcp_f32_e32 v5, v5                                       // 00000000633C: 7E0A4505
	v_rcp_f32_e32 v6, v6                                       // 000000006340: 7E0C4506
	v_rcp_f32_e32 v7, v7                                       // 000000006344: 7E0E4507
	v_mul_f32_e32 v76, v76, v4                                 // 000000006348: 0A98094C
	v_mul_f32_e32 v77, v77, v5                                 // 00000000634C: 0A9A0B4D
	v_mul_f32_e32 v78, v78, v6                                 // 000000006350: 0A9C0D4E
	v_mul_f32_e32 v79, v79, v7                                 // 000000006354: 0A9E0F4F
	v_mul_f32_e32 v76, v76, v172                               // 000000006358: 0A99594C
	v_mul_f32_e32 v77, v77, v173                               // 00000000635C: 0A9B5B4D
	v_mul_f32_e32 v78, v78, v174                               // 000000006360: 0A9D5D4E
	v_mul_f32_e32 v79, v79, v175                               // 000000006364: 0A9F5F4F
	v_mul_f32_e64 v4, -v80, s6                                 // 000000006368: D1050004 20000D50
	v_mul_f32_e64 v5, -v81, s6                                 // 000000006370: D1050005 20000D51
	v_mul_f32_e64 v6, -v82, s6                                 // 000000006378: D1050006 20000D52
	v_mul_f32_e64 v7, -v83, s6                                 // 000000006380: D1050007 20000D53
	v_exp_f32_e32 v4, v4                                       // 000000006388: 7E084104
	v_exp_f32_e32 v5, v5                                       // 00000000638C: 7E0A4105
	v_exp_f32_e32 v6, v6                                       // 000000006390: 7E0C4106
	v_exp_f32_e32 v7, v7                                       // 000000006394: 7E0E4107
	v_add_f32_e64 v4, v4, 1.0                                  // 000000006398: D1010004 0001E504
	v_add_f32_e64 v5, v5, 1.0                                  // 0000000063A0: D1010005 0001E505
	v_add_f32_e64 v6, v6, 1.0                                  // 0000000063A8: D1010006 0001E506
	v_add_f32_e64 v7, v7, 1.0                                  // 0000000063B0: D1010007 0001E507
	v_rcp_f32_e32 v4, v4                                       // 0000000063B8: 7E084504
	v_rcp_f32_e32 v5, v5                                       // 0000000063BC: 7E0A4505
	v_rcp_f32_e32 v6, v6                                       // 0000000063C0: 7E0C4506
	v_rcp_f32_e32 v7, v7                                       // 0000000063C4: 7E0E4507
	v_mul_f32_e32 v80, v80, v4                                 // 0000000063C8: 0AA00950
	v_mul_f32_e32 v81, v81, v5                                 // 0000000063CC: 0AA20B51
	v_mul_f32_e32 v82, v82, v6                                 // 0000000063D0: 0AA40D52
	v_mul_f32_e32 v83, v83, v7                                 // 0000000063D4: 0AA60F53
	v_mul_f32_e32 v80, v80, v176                               // 0000000063D8: 0AA16150
	v_mul_f32_e32 v81, v81, v177                               // 0000000063DC: 0AA36351
	v_mul_f32_e32 v82, v82, v178                               // 0000000063E0: 0AA56552
	v_mul_f32_e32 v83, v83, v179                               // 0000000063E4: 0AA76753
	v_mul_f32_e64 v4, -v84, s6                                 // 0000000063E8: D1050004 20000D54
	v_mul_f32_e64 v5, -v85, s6                                 // 0000000063F0: D1050005 20000D55
	v_mul_f32_e64 v6, -v86, s6                                 // 0000000063F8: D1050006 20000D56
	v_mul_f32_e64 v7, -v87, s6                                 // 000000006400: D1050007 20000D57
	v_exp_f32_e32 v4, v4                                       // 000000006408: 7E084104
	v_exp_f32_e32 v5, v5                                       // 00000000640C: 7E0A4105
	v_exp_f32_e32 v6, v6                                       // 000000006410: 7E0C4106
	v_exp_f32_e32 v7, v7                                       // 000000006414: 7E0E4107
	v_add_f32_e64 v4, v4, 1.0                                  // 000000006418: D1010004 0001E504
	v_add_f32_e64 v5, v5, 1.0                                  // 000000006420: D1010005 0001E505
	v_add_f32_e64 v6, v6, 1.0                                  // 000000006428: D1010006 0001E506
	v_add_f32_e64 v7, v7, 1.0                                  // 000000006430: D1010007 0001E507
	v_rcp_f32_e32 v4, v4                                       // 000000006438: 7E084504
	v_rcp_f32_e32 v5, v5                                       // 00000000643C: 7E0A4505
	v_rcp_f32_e32 v6, v6                                       // 000000006440: 7E0C4506
	v_rcp_f32_e32 v7, v7                                       // 000000006444: 7E0E4507
	v_mul_f32_e32 v84, v84, v4                                 // 000000006448: 0AA80954
	v_mul_f32_e32 v85, v85, v5                                 // 00000000644C: 0AAA0B55
	v_mul_f32_e32 v86, v86, v6                                 // 000000006450: 0AAC0D56
	v_mul_f32_e32 v87, v87, v7                                 // 000000006454: 0AAE0F57
	v_mul_f32_e32 v84, v84, v180                               // 000000006458: 0AA96954
	v_mul_f32_e32 v85, v85, v181                               // 00000000645C: 0AAB6B55
	v_mul_f32_e32 v86, v86, v182                               // 000000006460: 0AAD6D56
	v_mul_f32_e32 v87, v87, v183                               // 000000006464: 0AAF6F57
	v_mul_f32_e64 v4, -v88, s6                                 // 000000006468: D1050004 20000D58
	v_mul_f32_e64 v5, -v89, s6                                 // 000000006470: D1050005 20000D59
	v_mul_f32_e64 v6, -v90, s6                                 // 000000006478: D1050006 20000D5A
	v_mul_f32_e64 v7, -v91, s6                                 // 000000006480: D1050007 20000D5B
	v_exp_f32_e32 v4, v4                                       // 000000006488: 7E084104
	v_exp_f32_e32 v5, v5                                       // 00000000648C: 7E0A4105
	v_exp_f32_e32 v6, v6                                       // 000000006490: 7E0C4106
	v_exp_f32_e32 v7, v7                                       // 000000006494: 7E0E4107
	v_add_f32_e64 v4, v4, 1.0                                  // 000000006498: D1010004 0001E504
	v_add_f32_e64 v5, v5, 1.0                                  // 0000000064A0: D1010005 0001E505
	v_add_f32_e64 v6, v6, 1.0                                  // 0000000064A8: D1010006 0001E506
	v_add_f32_e64 v7, v7, 1.0                                  // 0000000064B0: D1010007 0001E507
	v_rcp_f32_e32 v4, v4                                       // 0000000064B8: 7E084504
	v_rcp_f32_e32 v5, v5                                       // 0000000064BC: 7E0A4505
	v_rcp_f32_e32 v6, v6                                       // 0000000064C0: 7E0C4506
	v_rcp_f32_e32 v7, v7                                       // 0000000064C4: 7E0E4507
	v_mul_f32_e32 v88, v88, v4                                 // 0000000064C8: 0AB00958
	v_mul_f32_e32 v89, v89, v5                                 // 0000000064CC: 0AB20B59
	v_mul_f32_e32 v90, v90, v6                                 // 0000000064D0: 0AB40D5A
	v_mul_f32_e32 v91, v91, v7                                 // 0000000064D4: 0AB60F5B
	v_mul_f32_e32 v88, v88, v184                               // 0000000064D8: 0AB17158
	v_mul_f32_e32 v89, v89, v185                               // 0000000064DC: 0AB37359
	v_mul_f32_e32 v90, v90, v186                               // 0000000064E0: 0AB5755A
	v_mul_f32_e32 v91, v91, v187                               // 0000000064E4: 0AB7775B
	v_mul_f32_e64 v4, -v92, s6                                 // 0000000064E8: D1050004 20000D5C
	v_mul_f32_e64 v5, -v93, s6                                 // 0000000064F0: D1050005 20000D5D
	v_mul_f32_e64 v6, -v94, s6                                 // 0000000064F8: D1050006 20000D5E
	v_mul_f32_e64 v7, -v95, s6                                 // 000000006500: D1050007 20000D5F
	v_exp_f32_e32 v4, v4                                       // 000000006508: 7E084104
	v_exp_f32_e32 v5, v5                                       // 00000000650C: 7E0A4105
	v_exp_f32_e32 v6, v6                                       // 000000006510: 7E0C4106
	v_exp_f32_e32 v7, v7                                       // 000000006514: 7E0E4107
	v_add_f32_e64 v4, v4, 1.0                                  // 000000006518: D1010004 0001E504
	v_add_f32_e64 v5, v5, 1.0                                  // 000000006520: D1010005 0001E505
	v_add_f32_e64 v6, v6, 1.0                                  // 000000006528: D1010006 0001E506
	v_add_f32_e64 v7, v7, 1.0                                  // 000000006530: D1010007 0001E507
	v_rcp_f32_e32 v4, v4                                       // 000000006538: 7E084504
	v_rcp_f32_e32 v5, v5                                       // 00000000653C: 7E0A4505
	v_rcp_f32_e32 v6, v6                                       // 000000006540: 7E0C4506
	v_rcp_f32_e32 v7, v7                                       // 000000006544: 7E0E4507
	v_mul_f32_e32 v92, v92, v4                                 // 000000006548: 0AB8095C
	v_mul_f32_e32 v93, v93, v5                                 // 00000000654C: 0ABA0B5D
	v_mul_f32_e32 v94, v94, v6                                 // 000000006550: 0ABC0D5E
	v_mul_f32_e32 v95, v95, v7                                 // 000000006554: 0ABE0F5F
	v_mul_f32_e32 v92, v92, v188                               // 000000006558: 0AB9795C
	v_mul_f32_e32 v93, v93, v189                               // 00000000655C: 0ABB7B5D
	v_mul_f32_e32 v94, v94, v190                               // 000000006560: 0ABD7D5E
	v_mul_f32_e32 v95, v95, v191                               // 000000006564: 0ABF7F5F
	v_mul_f32_e64 v4, -v96, s6                                 // 000000006568: D1050004 20000D60
	v_mul_f32_e64 v5, -v97, s6                                 // 000000006570: D1050005 20000D61
	v_mul_f32_e64 v6, -v98, s6                                 // 000000006578: D1050006 20000D62
	v_mul_f32_e64 v7, -v99, s6                                 // 000000006580: D1050007 20000D63
	v_exp_f32_e32 v4, v4                                       // 000000006588: 7E084104
	v_exp_f32_e32 v5, v5                                       // 00000000658C: 7E0A4105
	v_exp_f32_e32 v6, v6                                       // 000000006590: 7E0C4106
	v_exp_f32_e32 v7, v7                                       // 000000006594: 7E0E4107
	v_add_f32_e64 v4, v4, 1.0                                  // 000000006598: D1010004 0001E504
	v_add_f32_e64 v5, v5, 1.0                                  // 0000000065A0: D1010005 0001E505
	v_add_f32_e64 v6, v6, 1.0                                  // 0000000065A8: D1010006 0001E506
	v_add_f32_e64 v7, v7, 1.0                                  // 0000000065B0: D1010007 0001E507
	v_rcp_f32_e32 v4, v4                                       // 0000000065B8: 7E084504
	v_rcp_f32_e32 v5, v5                                       // 0000000065BC: 7E0A4505
	v_rcp_f32_e32 v6, v6                                       // 0000000065C0: 7E0C4506
	v_rcp_f32_e32 v7, v7                                       // 0000000065C4: 7E0E4507
	v_mul_f32_e32 v96, v96, v4                                 // 0000000065C8: 0AC00960
	v_mul_f32_e32 v97, v97, v5                                 // 0000000065CC: 0AC20B61
	v_mul_f32_e32 v98, v98, v6                                 // 0000000065D0: 0AC40D62
	v_mul_f32_e32 v99, v99, v7                                 // 0000000065D4: 0AC60F63
	v_mul_f32_e32 v96, v96, v192                               // 0000000065D8: 0AC18160
	v_mul_f32_e32 v97, v97, v193                               // 0000000065DC: 0AC38361
	v_mul_f32_e32 v98, v98, v194                               // 0000000065E0: 0AC58562
	v_mul_f32_e32 v99, v99, v195                               // 0000000065E4: 0AC78763
	v_mul_f32_e64 v4, -v100, s6                                // 0000000065E8: D1050004 20000D64
	v_mul_f32_e64 v5, -v101, s6                                // 0000000065F0: D1050005 20000D65
	v_mul_f32_e64 v6, -v102, s6                                // 0000000065F8: D1050006 20000D66
	v_mul_f32_e64 v7, -v103, s6                                // 000000006600: D1050007 20000D67
	v_exp_f32_e32 v4, v4                                       // 000000006608: 7E084104
	v_exp_f32_e32 v5, v5                                       // 00000000660C: 7E0A4105
	v_exp_f32_e32 v6, v6                                       // 000000006610: 7E0C4106
	v_exp_f32_e32 v7, v7                                       // 000000006614: 7E0E4107
	v_add_f32_e64 v4, v4, 1.0                                  // 000000006618: D1010004 0001E504
	v_add_f32_e64 v5, v5, 1.0                                  // 000000006620: D1010005 0001E505
	v_add_f32_e64 v6, v6, 1.0                                  // 000000006628: D1010006 0001E506
	v_add_f32_e64 v7, v7, 1.0                                  // 000000006630: D1010007 0001E507
	v_rcp_f32_e32 v4, v4                                       // 000000006638: 7E084504
	v_rcp_f32_e32 v5, v5                                       // 00000000663C: 7E0A4505
	v_rcp_f32_e32 v6, v6                                       // 000000006640: 7E0C4506
	v_rcp_f32_e32 v7, v7                                       // 000000006644: 7E0E4507
	v_mul_f32_e32 v100, v100, v4                               // 000000006648: 0AC80964
	v_mul_f32_e32 v101, v101, v5                               // 00000000664C: 0ACA0B65
	v_mul_f32_e32 v102, v102, v6                               // 000000006650: 0ACC0D66
	v_mul_f32_e32 v103, v103, v7                               // 000000006654: 0ACE0F67
	v_mul_f32_e32 v100, v100, v196                             // 000000006658: 0AC98964
	v_mul_f32_e32 v101, v101, v197                             // 00000000665C: 0ACB8B65
	v_mul_f32_e32 v102, v102, v198                             // 000000006660: 0ACD8D66
	v_mul_f32_e32 v103, v103, v199                             // 000000006664: 0ACF8F67
	v_mul_f32_e64 v4, -v104, s6                                // 000000006668: D1050004 20000D68
	v_mul_f32_e64 v5, -v105, s6                                // 000000006670: D1050005 20000D69
	v_mul_f32_e64 v6, -v106, s6                                // 000000006678: D1050006 20000D6A
	v_mul_f32_e64 v7, -v107, s6                                // 000000006680: D1050007 20000D6B
	v_exp_f32_e32 v4, v4                                       // 000000006688: 7E084104
	v_exp_f32_e32 v5, v5                                       // 00000000668C: 7E0A4105
	v_exp_f32_e32 v6, v6                                       // 000000006690: 7E0C4106
	v_exp_f32_e32 v7, v7                                       // 000000006694: 7E0E4107
	v_add_f32_e64 v4, v4, 1.0                                  // 000000006698: D1010004 0001E504
	v_add_f32_e64 v5, v5, 1.0                                  // 0000000066A0: D1010005 0001E505
	v_add_f32_e64 v6, v6, 1.0                                  // 0000000066A8: D1010006 0001E506
	v_add_f32_e64 v7, v7, 1.0                                  // 0000000066B0: D1010007 0001E507
	v_rcp_f32_e32 v4, v4                                       // 0000000066B8: 7E084504
	v_rcp_f32_e32 v5, v5                                       // 0000000066BC: 7E0A4505
	v_rcp_f32_e32 v6, v6                                       // 0000000066C0: 7E0C4506
	v_rcp_f32_e32 v7, v7                                       // 0000000066C4: 7E0E4507
	v_mul_f32_e32 v104, v104, v4                               // 0000000066C8: 0AD00968
	v_mul_f32_e32 v105, v105, v5                               // 0000000066CC: 0AD20B69
	v_mul_f32_e32 v106, v106, v6                               // 0000000066D0: 0AD40D6A
	v_mul_f32_e32 v107, v107, v7                               // 0000000066D4: 0AD60F6B
	v_mul_f32_e32 v104, v104, v200                             // 0000000066D8: 0AD19168
	v_mul_f32_e32 v105, v105, v201                             // 0000000066DC: 0AD39369
	v_mul_f32_e32 v106, v106, v202                             // 0000000066E0: 0AD5956A
	v_mul_f32_e32 v107, v107, v203                             // 0000000066E4: 0AD7976B
	v_mul_f32_e64 v4, -v108, s6                                // 0000000066E8: D1050004 20000D6C
	v_mul_f32_e64 v5, -v109, s6                                // 0000000066F0: D1050005 20000D6D
	v_mul_f32_e64 v6, -v110, s6                                // 0000000066F8: D1050006 20000D6E
	v_mul_f32_e64 v7, -v111, s6                                // 000000006700: D1050007 20000D6F
	v_exp_f32_e32 v4, v4                                       // 000000006708: 7E084104
	v_exp_f32_e32 v5, v5                                       // 00000000670C: 7E0A4105
	v_exp_f32_e32 v6, v6                                       // 000000006710: 7E0C4106
	v_exp_f32_e32 v7, v7                                       // 000000006714: 7E0E4107
	v_add_f32_e64 v4, v4, 1.0                                  // 000000006718: D1010004 0001E504
	v_add_f32_e64 v5, v5, 1.0                                  // 000000006720: D1010005 0001E505
	v_add_f32_e64 v6, v6, 1.0                                  // 000000006728: D1010006 0001E506
	v_add_f32_e64 v7, v7, 1.0                                  // 000000006730: D1010007 0001E507
	v_rcp_f32_e32 v4, v4                                       // 000000006738: 7E084504
	v_rcp_f32_e32 v5, v5                                       // 00000000673C: 7E0A4505
	v_rcp_f32_e32 v6, v6                                       // 000000006740: 7E0C4506
	v_rcp_f32_e32 v7, v7                                       // 000000006744: 7E0E4507
	v_mul_f32_e32 v108, v108, v4                               // 000000006748: 0AD8096C
	v_mul_f32_e32 v109, v109, v5                               // 00000000674C: 0ADA0B6D
	v_mul_f32_e32 v110, v110, v6                               // 000000006750: 0ADC0D6E
	v_mul_f32_e32 v111, v111, v7                               // 000000006754: 0ADE0F6F
	v_mul_f32_e32 v108, v108, v204                             // 000000006758: 0AD9996C
	v_mul_f32_e32 v109, v109, v205                             // 00000000675C: 0ADB9B6D
	v_mul_f32_e32 v110, v110, v206                             // 000000006760: 0ADD9D6E
	v_mul_f32_e32 v111, v111, v207                             // 000000006764: 0ADF9F6F
	v_mul_f32_e64 v4, -v112, s6                                // 000000006768: D1050004 20000D70
	v_mul_f32_e64 v5, -v113, s6                                // 000000006770: D1050005 20000D71
	v_mul_f32_e64 v6, -v114, s6                                // 000000006778: D1050006 20000D72
	v_mul_f32_e64 v7, -v115, s6                                // 000000006780: D1050007 20000D73
	v_exp_f32_e32 v4, v4                                       // 000000006788: 7E084104
	v_exp_f32_e32 v5, v5                                       // 00000000678C: 7E0A4105
	v_exp_f32_e32 v6, v6                                       // 000000006790: 7E0C4106
	v_exp_f32_e32 v7, v7                                       // 000000006794: 7E0E4107
	v_add_f32_e64 v4, v4, 1.0                                  // 000000006798: D1010004 0001E504
	v_add_f32_e64 v5, v5, 1.0                                  // 0000000067A0: D1010005 0001E505
	v_add_f32_e64 v6, v6, 1.0                                  // 0000000067A8: D1010006 0001E506
	v_add_f32_e64 v7, v7, 1.0                                  // 0000000067B0: D1010007 0001E507
	v_rcp_f32_e32 v4, v4                                       // 0000000067B8: 7E084504
	v_rcp_f32_e32 v5, v5                                       // 0000000067BC: 7E0A4505
	v_rcp_f32_e32 v6, v6                                       // 0000000067C0: 7E0C4506
	v_rcp_f32_e32 v7, v7                                       // 0000000067C4: 7E0E4507
	v_mul_f32_e32 v112, v112, v4                               // 0000000067C8: 0AE00970
	v_mul_f32_e32 v113, v113, v5                               // 0000000067CC: 0AE20B71
	v_mul_f32_e32 v114, v114, v6                               // 0000000067D0: 0AE40D72
	v_mul_f32_e32 v115, v115, v7                               // 0000000067D4: 0AE60F73
	v_mul_f32_e32 v112, v112, v208                             // 0000000067D8: 0AE1A170
	v_mul_f32_e32 v113, v113, v209                             // 0000000067DC: 0AE3A371
	v_mul_f32_e32 v114, v114, v210                             // 0000000067E0: 0AE5A572
	v_mul_f32_e32 v115, v115, v211                             // 0000000067E4: 0AE7A773
	v_mul_f32_e64 v4, -v116, s6                                // 0000000067E8: D1050004 20000D74
	v_mul_f32_e64 v5, -v117, s6                                // 0000000067F0: D1050005 20000D75
	v_mul_f32_e64 v6, -v118, s6                                // 0000000067F8: D1050006 20000D76
	v_mul_f32_e64 v7, -v119, s6                                // 000000006800: D1050007 20000D77
	v_exp_f32_e32 v4, v4                                       // 000000006808: 7E084104
	v_exp_f32_e32 v5, v5                                       // 00000000680C: 7E0A4105
	v_exp_f32_e32 v6, v6                                       // 000000006810: 7E0C4106
	v_exp_f32_e32 v7, v7                                       // 000000006814: 7E0E4107
	v_add_f32_e64 v4, v4, 1.0                                  // 000000006818: D1010004 0001E504
	v_add_f32_e64 v5, v5, 1.0                                  // 000000006820: D1010005 0001E505
	v_add_f32_e64 v6, v6, 1.0                                  // 000000006828: D1010006 0001E506
	v_add_f32_e64 v7, v7, 1.0                                  // 000000006830: D1010007 0001E507
	v_rcp_f32_e32 v4, v4                                       // 000000006838: 7E084504
	v_rcp_f32_e32 v5, v5                                       // 00000000683C: 7E0A4505
	v_rcp_f32_e32 v6, v6                                       // 000000006840: 7E0C4506
	v_rcp_f32_e32 v7, v7                                       // 000000006844: 7E0E4507
	v_mul_f32_e32 v116, v116, v4                               // 000000006848: 0AE80974
	v_mul_f32_e32 v117, v117, v5                               // 00000000684C: 0AEA0B75
	v_mul_f32_e32 v118, v118, v6                               // 000000006850: 0AEC0D76
	v_mul_f32_e32 v119, v119, v7                               // 000000006854: 0AEE0F77
	v_mul_f32_e32 v116, v116, v212                             // 000000006858: 0AE9A974
	v_mul_f32_e32 v117, v117, v213                             // 00000000685C: 0AEBAB75
	v_mul_f32_e32 v118, v118, v214                             // 000000006860: 0AEDAD76
	v_mul_f32_e32 v119, v119, v215                             // 000000006864: 0AEFAF77
	v_mul_f32_e64 v4, -v120, s6                                // 000000006868: D1050004 20000D78
	v_mul_f32_e64 v5, -v121, s6                                // 000000006870: D1050005 20000D79
	v_mul_f32_e64 v6, -v122, s6                                // 000000006878: D1050006 20000D7A
	v_mul_f32_e64 v7, -v123, s6                                // 000000006880: D1050007 20000D7B
	v_exp_f32_e32 v4, v4                                       // 000000006888: 7E084104
	v_exp_f32_e32 v5, v5                                       // 00000000688C: 7E0A4105
	v_exp_f32_e32 v6, v6                                       // 000000006890: 7E0C4106
	v_exp_f32_e32 v7, v7                                       // 000000006894: 7E0E4107
	v_add_f32_e64 v4, v4, 1.0                                  // 000000006898: D1010004 0001E504
	v_add_f32_e64 v5, v5, 1.0                                  // 0000000068A0: D1010005 0001E505
	v_add_f32_e64 v6, v6, 1.0                                  // 0000000068A8: D1010006 0001E506
	v_add_f32_e64 v7, v7, 1.0                                  // 0000000068B0: D1010007 0001E507
	v_rcp_f32_e32 v4, v4                                       // 0000000068B8: 7E084504
	v_rcp_f32_e32 v5, v5                                       // 0000000068BC: 7E0A4505
	v_rcp_f32_e32 v6, v6                                       // 0000000068C0: 7E0C4506
	v_rcp_f32_e32 v7, v7                                       // 0000000068C4: 7E0E4507
	v_mul_f32_e32 v120, v120, v4                               // 0000000068C8: 0AF00978
	v_mul_f32_e32 v121, v121, v5                               // 0000000068CC: 0AF20B79
	v_mul_f32_e32 v122, v122, v6                               // 0000000068D0: 0AF40D7A
	v_mul_f32_e32 v123, v123, v7                               // 0000000068D4: 0AF60F7B
	v_mul_f32_e32 v120, v120, v216                             // 0000000068D8: 0AF1B178
	v_mul_f32_e32 v121, v121, v217                             // 0000000068DC: 0AF3B379
	v_mul_f32_e32 v122, v122, v218                             // 0000000068E0: 0AF5B57A
	v_mul_f32_e32 v123, v123, v219                             // 0000000068E4: 0AF7B77B
	v_mul_f32_e64 v4, -v124, s6                                // 0000000068E8: D1050004 20000D7C
	v_mul_f32_e64 v5, -v125, s6                                // 0000000068F0: D1050005 20000D7D
	v_mul_f32_e64 v6, -v126, s6                                // 0000000068F8: D1050006 20000D7E
	v_mul_f32_e64 v7, -v127, s6                                // 000000006900: D1050007 20000D7F
	v_exp_f32_e32 v4, v4                                       // 000000006908: 7E084104
	v_exp_f32_e32 v5, v5                                       // 00000000690C: 7E0A4105
	v_exp_f32_e32 v6, v6                                       // 000000006910: 7E0C4106
	v_exp_f32_e32 v7, v7                                       // 000000006914: 7E0E4107
	v_add_f32_e64 v4, v4, 1.0                                  // 000000006918: D1010004 0001E504
	v_add_f32_e64 v5, v5, 1.0                                  // 000000006920: D1010005 0001E505
	v_add_f32_e64 v6, v6, 1.0                                  // 000000006928: D1010006 0001E506
	v_add_f32_e64 v7, v7, 1.0                                  // 000000006930: D1010007 0001E507
	v_rcp_f32_e32 v4, v4                                       // 000000006938: 7E084504
	v_rcp_f32_e32 v5, v5                                       // 00000000693C: 7E0A4505
	v_rcp_f32_e32 v6, v6                                       // 000000006940: 7E0C4506
	v_rcp_f32_e32 v7, v7                                       // 000000006944: 7E0E4507
	v_mul_f32_e32 v124, v124, v4                               // 000000006948: 0AF8097C
	v_mul_f32_e32 v125, v125, v5                               // 00000000694C: 0AFA0B7D
	v_mul_f32_e32 v126, v126, v6                               // 000000006950: 0AFC0D7E
	v_mul_f32_e32 v127, v127, v7                               // 000000006954: 0AFE0F7F
	v_mul_f32_e32 v124, v124, v220                             // 000000006958: 0AF9B97C
	v_mul_f32_e32 v125, v125, v221                             // 00000000695C: 0AFBBB7D
	v_mul_f32_e32 v126, v126, v222                             // 000000006960: 0AFDBD7E
	v_mul_f32_e32 v127, v127, v223                             // 000000006964: 0AFFBF7F
	v_mul_f32_e64 v4, -v128, s6                                // 000000006968: D1050004 20000D80
	v_mul_f32_e64 v5, -v129, s6                                // 000000006970: D1050005 20000D81
	v_mul_f32_e64 v6, -v130, s6                                // 000000006978: D1050006 20000D82
	v_mul_f32_e64 v7, -v131, s6                                // 000000006980: D1050007 20000D83
	v_exp_f32_e32 v4, v4                                       // 000000006988: 7E084104
	v_exp_f32_e32 v5, v5                                       // 00000000698C: 7E0A4105
	v_exp_f32_e32 v6, v6                                       // 000000006990: 7E0C4106
	v_exp_f32_e32 v7, v7                                       // 000000006994: 7E0E4107
	v_add_f32_e64 v4, v4, 1.0                                  // 000000006998: D1010004 0001E504
	v_add_f32_e64 v5, v5, 1.0                                  // 0000000069A0: D1010005 0001E505
	v_add_f32_e64 v6, v6, 1.0                                  // 0000000069A8: D1010006 0001E506
	v_add_f32_e64 v7, v7, 1.0                                  // 0000000069B0: D1010007 0001E507
	v_rcp_f32_e32 v4, v4                                       // 0000000069B8: 7E084504
	v_rcp_f32_e32 v5, v5                                       // 0000000069BC: 7E0A4505
	v_rcp_f32_e32 v6, v6                                       // 0000000069C0: 7E0C4506
	v_rcp_f32_e32 v7, v7                                       // 0000000069C4: 7E0E4507
	v_mul_f32_e32 v128, v128, v4                               // 0000000069C8: 0B000980
	v_mul_f32_e32 v129, v129, v5                               // 0000000069CC: 0B020B81
	v_mul_f32_e32 v130, v130, v6                               // 0000000069D0: 0B040D82
	v_mul_f32_e32 v131, v131, v7                               // 0000000069D4: 0B060F83
	v_mul_f32_e32 v128, v128, v224                             // 0000000069D8: 0B01C180
	v_mul_f32_e32 v129, v129, v225                             // 0000000069DC: 0B03C381
	v_mul_f32_e32 v130, v130, v226                             // 0000000069E0: 0B05C582
	v_mul_f32_e32 v131, v131, v227                             // 0000000069E4: 0B07C783
	v_mul_f32_e64 v4, -v132, s6                                // 0000000069E8: D1050004 20000D84
	v_mul_f32_e64 v5, -v133, s6                                // 0000000069F0: D1050005 20000D85
	v_mul_f32_e64 v6, -v134, s6                                // 0000000069F8: D1050006 20000D86
	v_mul_f32_e64 v7, -v135, s6                                // 000000006A00: D1050007 20000D87
	v_exp_f32_e32 v4, v4                                       // 000000006A08: 7E084104
	v_exp_f32_e32 v5, v5                                       // 000000006A0C: 7E0A4105
	v_exp_f32_e32 v6, v6                                       // 000000006A10: 7E0C4106
	v_exp_f32_e32 v7, v7                                       // 000000006A14: 7E0E4107
	v_add_f32_e64 v4, v4, 1.0                                  // 000000006A18: D1010004 0001E504
	v_add_f32_e64 v5, v5, 1.0                                  // 000000006A20: D1010005 0001E505
	v_add_f32_e64 v6, v6, 1.0                                  // 000000006A28: D1010006 0001E506
	v_add_f32_e64 v7, v7, 1.0                                  // 000000006A30: D1010007 0001E507
	v_rcp_f32_e32 v4, v4                                       // 000000006A38: 7E084504
	v_rcp_f32_e32 v5, v5                                       // 000000006A3C: 7E0A4505
	v_rcp_f32_e32 v6, v6                                       // 000000006A40: 7E0C4506
	v_rcp_f32_e32 v7, v7                                       // 000000006A44: 7E0E4507
	v_mul_f32_e32 v132, v132, v4                               // 000000006A48: 0B080984
	v_mul_f32_e32 v133, v133, v5                               // 000000006A4C: 0B0A0B85
	v_mul_f32_e32 v134, v134, v6                               // 000000006A50: 0B0C0D86
	v_mul_f32_e32 v135, v135, v7                               // 000000006A54: 0B0E0F87
	v_mul_f32_e32 v132, v132, v228                             // 000000006A58: 0B09C984
	v_mul_f32_e32 v133, v133, v229                             // 000000006A5C: 0B0BCB85
	v_mul_f32_e32 v134, v134, v230                             // 000000006A60: 0B0DCD86
	v_mul_f32_e32 v135, v135, v231                             // 000000006A64: 0B0FCF87
	v_mul_f32_e64 v4, -v136, s6                                // 000000006A68: D1050004 20000D88
	v_mul_f32_e64 v5, -v137, s6                                // 000000006A70: D1050005 20000D89
	v_mul_f32_e64 v6, -v138, s6                                // 000000006A78: D1050006 20000D8A
	v_mul_f32_e64 v7, -v139, s6                                // 000000006A80: D1050007 20000D8B
	v_exp_f32_e32 v4, v4                                       // 000000006A88: 7E084104
	v_exp_f32_e32 v5, v5                                       // 000000006A8C: 7E0A4105
	v_exp_f32_e32 v6, v6                                       // 000000006A90: 7E0C4106
	v_exp_f32_e32 v7, v7                                       // 000000006A94: 7E0E4107
	v_add_f32_e64 v4, v4, 1.0                                  // 000000006A98: D1010004 0001E504
	v_add_f32_e64 v5, v5, 1.0                                  // 000000006AA0: D1010005 0001E505
	v_add_f32_e64 v6, v6, 1.0                                  // 000000006AA8: D1010006 0001E506
	v_add_f32_e64 v7, v7, 1.0                                  // 000000006AB0: D1010007 0001E507
	v_rcp_f32_e32 v4, v4                                       // 000000006AB8: 7E084504
	v_rcp_f32_e32 v5, v5                                       // 000000006ABC: 7E0A4505
	v_rcp_f32_e32 v6, v6                                       // 000000006AC0: 7E0C4506
	v_rcp_f32_e32 v7, v7                                       // 000000006AC4: 7E0E4507
	v_mul_f32_e32 v136, v136, v4                               // 000000006AC8: 0B100988
	v_mul_f32_e32 v137, v137, v5                               // 000000006ACC: 0B120B89
	v_mul_f32_e32 v138, v138, v6                               // 000000006AD0: 0B140D8A
	v_mul_f32_e32 v139, v139, v7                               // 000000006AD4: 0B160F8B
	v_mul_f32_e32 v136, v136, v232                             // 000000006AD8: 0B11D188
	v_mul_f32_e32 v137, v137, v233                             // 000000006ADC: 0B13D389
	v_mul_f32_e32 v138, v138, v234                             // 000000006AE0: 0B15D58A
	v_mul_f32_e32 v139, v139, v235                             // 000000006AE4: 0B17D78B
	v_mul_f32_e64 v4, -v140, s6                                // 000000006AE8: D1050004 20000D8C
	v_mul_f32_e64 v5, -v141, s6                                // 000000006AF0: D1050005 20000D8D
	v_mul_f32_e64 v6, -v142, s6                                // 000000006AF8: D1050006 20000D8E
	v_mul_f32_e64 v7, -v143, s6                                // 000000006B00: D1050007 20000D8F
	v_exp_f32_e32 v4, v4                                       // 000000006B08: 7E084104
	v_exp_f32_e32 v5, v5                                       // 000000006B0C: 7E0A4105
	v_exp_f32_e32 v6, v6                                       // 000000006B10: 7E0C4106
	v_exp_f32_e32 v7, v7                                       // 000000006B14: 7E0E4107
	v_add_f32_e64 v4, v4, 1.0                                  // 000000006B18: D1010004 0001E504
	v_add_f32_e64 v5, v5, 1.0                                  // 000000006B20: D1010005 0001E505
	v_add_f32_e64 v6, v6, 1.0                                  // 000000006B28: D1010006 0001E506
	v_add_f32_e64 v7, v7, 1.0                                  // 000000006B30: D1010007 0001E507
	v_rcp_f32_e32 v4, v4                                       // 000000006B38: 7E084504
	v_rcp_f32_e32 v5, v5                                       // 000000006B3C: 7E0A4505
	v_rcp_f32_e32 v6, v6                                       // 000000006B40: 7E0C4506
	v_rcp_f32_e32 v7, v7                                       // 000000006B44: 7E0E4507
	v_mul_f32_e32 v140, v140, v4                               // 000000006B48: 0B18098C
	v_mul_f32_e32 v141, v141, v5                               // 000000006B4C: 0B1A0B8D
	v_mul_f32_e32 v142, v142, v6                               // 000000006B50: 0B1C0D8E
	v_mul_f32_e32 v143, v143, v7                               // 000000006B54: 0B1E0F8F
	v_mul_f32_e32 v140, v140, v236                             // 000000006B58: 0B19D98C
	v_mul_f32_e32 v141, v141, v237                             // 000000006B5C: 0B1BDB8D
	v_mul_f32_e32 v142, v142, v238                             // 000000006B60: 0B1DDD8E
	v_mul_f32_e32 v143, v143, v239                             // 000000006B64: 0B1FDF8F
	v_mul_f32_e64 v4, -v144, s6                                // 000000006B68: D1050004 20000D90
	v_mul_f32_e64 v5, -v145, s6                                // 000000006B70: D1050005 20000D91
	v_mul_f32_e64 v6, -v146, s6                                // 000000006B78: D1050006 20000D92
	v_mul_f32_e64 v7, -v147, s6                                // 000000006B80: D1050007 20000D93
	v_exp_f32_e32 v4, v4                                       // 000000006B88: 7E084104
	v_exp_f32_e32 v5, v5                                       // 000000006B8C: 7E0A4105
	v_exp_f32_e32 v6, v6                                       // 000000006B90: 7E0C4106
	v_exp_f32_e32 v7, v7                                       // 000000006B94: 7E0E4107
	v_add_f32_e64 v4, v4, 1.0                                  // 000000006B98: D1010004 0001E504
	v_add_f32_e64 v5, v5, 1.0                                  // 000000006BA0: D1010005 0001E505
	v_add_f32_e64 v6, v6, 1.0                                  // 000000006BA8: D1010006 0001E506
	v_add_f32_e64 v7, v7, 1.0                                  // 000000006BB0: D1010007 0001E507
	v_rcp_f32_e32 v4, v4                                       // 000000006BB8: 7E084504
	v_rcp_f32_e32 v5, v5                                       // 000000006BBC: 7E0A4505
	v_rcp_f32_e32 v6, v6                                       // 000000006BC0: 7E0C4506
	v_rcp_f32_e32 v7, v7                                       // 000000006BC4: 7E0E4507
	v_mul_f32_e32 v144, v144, v4                               // 000000006BC8: 0B200990
	v_mul_f32_e32 v145, v145, v5                               // 000000006BCC: 0B220B91
	v_mul_f32_e32 v146, v146, v6                               // 000000006BD0: 0B240D92
	v_mul_f32_e32 v147, v147, v7                               // 000000006BD4: 0B260F93
	v_mul_f32_e32 v144, v144, v240                             // 000000006BD8: 0B21E190
	v_mul_f32_e32 v145, v145, v241                             // 000000006BDC: 0B23E391
	v_mul_f32_e32 v146, v146, v242                             // 000000006BE0: 0B25E592
	v_mul_f32_e32 v147, v147, v243                             // 000000006BE4: 0B27E793
	v_mul_f32_e64 v4, -v148, s6                                // 000000006BE8: D1050004 20000D94
	v_mul_f32_e64 v5, -v149, s6                                // 000000006BF0: D1050005 20000D95
	v_mul_f32_e64 v6, -v150, s6                                // 000000006BF8: D1050006 20000D96
	v_mul_f32_e64 v7, -v151, s6                                // 000000006C00: D1050007 20000D97
	v_exp_f32_e32 v4, v4                                       // 000000006C08: 7E084104
	v_exp_f32_e32 v5, v5                                       // 000000006C0C: 7E0A4105
	v_exp_f32_e32 v6, v6                                       // 000000006C10: 7E0C4106
	v_exp_f32_e32 v7, v7                                       // 000000006C14: 7E0E4107
	v_add_f32_e64 v4, v4, 1.0                                  // 000000006C18: D1010004 0001E504
	v_add_f32_e64 v5, v5, 1.0                                  // 000000006C20: D1010005 0001E505
	v_add_f32_e64 v6, v6, 1.0                                  // 000000006C28: D1010006 0001E506
	v_add_f32_e64 v7, v7, 1.0                                  // 000000006C30: D1010007 0001E507
	v_rcp_f32_e32 v4, v4                                       // 000000006C38: 7E084504
	v_rcp_f32_e32 v5, v5                                       // 000000006C3C: 7E0A4505
	v_rcp_f32_e32 v6, v6                                       // 000000006C40: 7E0C4506
	v_rcp_f32_e32 v7, v7                                       // 000000006C44: 7E0E4507
	v_mul_f32_e32 v148, v148, v4                               // 000000006C48: 0B280994
	v_mul_f32_e32 v149, v149, v5                               // 000000006C4C: 0B2A0B95
	v_mul_f32_e32 v150, v150, v6                               // 000000006C50: 0B2C0D96
	v_mul_f32_e32 v151, v151, v7                               // 000000006C54: 0B2E0F97
	v_mul_f32_e32 v148, v148, v244                             // 000000006C58: 0B29E994
	v_mul_f32_e32 v149, v149, v245                             // 000000006C5C: 0B2BEB95
	v_mul_f32_e32 v150, v150, v246                             // 000000006C60: 0B2DED96
	v_mul_f32_e32 v151, v151, v247                             // 000000006C64: 0B2FEF97

0000000000006c68 <label_109A>:
	v_cmp_u_f32_e64 s[46:47], v56, v56                         // 000000006C68: D048002E 00027138
	v_add3_u32 v16, v56, v19, 1                                // 000000006C70: D1FF0010 02062738
	v_cndmask_b32_e64 v4, v16, v18, s[46:47]                   // 000000006C78: D1000004 00BA2510
	v_cmp_u_f32_e64 s[46:47], v57, v57                         // 000000006C80: D048002E 00027339
	v_add3_u32 v16, v57, v19, 1                                // 000000006C88: D1FF0010 02062739
	v_cndmask_b32_e64 v5, v16, v18, s[46:47]                   // 000000006C90: D1000005 00BA2510
	v_perm_b32 v56, v5, v4, s52                                // 000000006C98: D1ED0038 00D20905
	v_cmp_u_f32_e64 s[46:47], v58, v58                         // 000000006CA0: D048002E 0002753A
	v_add3_u32 v16, v58, v19, 1                                // 000000006CA8: D1FF0010 0206273A
	v_cndmask_b32_e64 v4, v16, v18, s[46:47]                   // 000000006CB0: D1000004 00BA2510
	v_cmp_u_f32_e64 s[46:47], v59, v59                         // 000000006CB8: D048002E 0002773B
	v_add3_u32 v16, v59, v19, 1                                // 000000006CC0: D1FF0010 0206273B
	v_cndmask_b32_e64 v5, v16, v18, s[46:47]                   // 000000006CC8: D1000005 00BA2510
	v_perm_b32 v57, v5, v4, s52                                // 000000006CD0: D1ED0039 00D20905
	v_cmp_u_f32_e64 s[46:47], v60, v60                         // 000000006CD8: D048002E 0002793C
	v_add3_u32 v16, v60, v19, 1                                // 000000006CE0: D1FF0010 0206273C
	v_cndmask_b32_e64 v4, v16, v18, s[46:47]                   // 000000006CE8: D1000004 00BA2510
	v_cmp_u_f32_e64 s[46:47], v61, v61                         // 000000006CF0: D048002E 00027B3D
	v_add3_u32 v16, v61, v19, 1                                // 000000006CF8: D1FF0010 0206273D
	v_cndmask_b32_e64 v5, v16, v18, s[46:47]                   // 000000006D00: D1000005 00BA2510
	v_perm_b32 v58, v5, v4, s52                                // 000000006D08: D1ED003A 00D20905
	v_cmp_u_f32_e64 s[46:47], v62, v62                         // 000000006D10: D048002E 00027D3E
	v_add3_u32 v16, v62, v19, 1                                // 000000006D18: D1FF0010 0206273E
	v_cndmask_b32_e64 v4, v16, v18, s[46:47]                   // 000000006D20: D1000004 00BA2510
	v_cmp_u_f32_e64 s[46:47], v63, v63                         // 000000006D28: D048002E 00027F3F
	v_add3_u32 v16, v63, v19, 1                                // 000000006D30: D1FF0010 0206273F
	v_cndmask_b32_e64 v5, v16, v18, s[46:47]                   // 000000006D38: D1000005 00BA2510
	v_perm_b32 v59, v5, v4, s52                                // 000000006D40: D1ED003B 00D20905
	v_cmp_u_f32_e64 s[46:47], v64, v64                         // 000000006D48: D048002E 00028140
	v_add3_u32 v16, v64, v19, 1                                // 000000006D50: D1FF0010 02062740
	v_cndmask_b32_e64 v4, v16, v18, s[46:47]                   // 000000006D58: D1000004 00BA2510
	v_cmp_u_f32_e64 s[46:47], v65, v65                         // 000000006D60: D048002E 00028341
	v_add3_u32 v16, v65, v19, 1                                // 000000006D68: D1FF0010 02062741
	v_cndmask_b32_e64 v5, v16, v18, s[46:47]                   // 000000006D70: D1000005 00BA2510
	v_perm_b32 v60, v5, v4, s52                                // 000000006D78: D1ED003C 00D20905
	v_cmp_u_f32_e64 s[46:47], v66, v66                         // 000000006D80: D048002E 00028542
	v_add3_u32 v16, v66, v19, 1                                // 000000006D88: D1FF0010 02062742
	v_cndmask_b32_e64 v4, v16, v18, s[46:47]                   // 000000006D90: D1000004 00BA2510
	v_cmp_u_f32_e64 s[46:47], v67, v67                         // 000000006D98: D048002E 00028743
	v_add3_u32 v16, v67, v19, 1                                // 000000006DA0: D1FF0010 02062743
	v_cndmask_b32_e64 v5, v16, v18, s[46:47]                   // 000000006DA8: D1000005 00BA2510
	v_perm_b32 v61, v5, v4, s52                                // 000000006DB0: D1ED003D 00D20905
	v_cmp_u_f32_e64 s[46:47], v68, v68                         // 000000006DB8: D048002E 00028944
	v_add3_u32 v16, v68, v19, 1                                // 000000006DC0: D1FF0010 02062744
	v_cndmask_b32_e64 v4, v16, v18, s[46:47]                   // 000000006DC8: D1000004 00BA2510
	v_cmp_u_f32_e64 s[46:47], v69, v69                         // 000000006DD0: D048002E 00028B45
	v_add3_u32 v16, v69, v19, 1                                // 000000006DD8: D1FF0010 02062745
	v_cndmask_b32_e64 v5, v16, v18, s[46:47]                   // 000000006DE0: D1000005 00BA2510
	v_perm_b32 v62, v5, v4, s52                                // 000000006DE8: D1ED003E 00D20905
	v_cmp_u_f32_e64 s[46:47], v70, v70                         // 000000006DF0: D048002E 00028D46
	v_add3_u32 v16, v70, v19, 1                                // 000000006DF8: D1FF0010 02062746
	v_cndmask_b32_e64 v4, v16, v18, s[46:47]                   // 000000006E00: D1000004 00BA2510
	v_cmp_u_f32_e64 s[46:47], v71, v71                         // 000000006E08: D048002E 00028F47
	v_add3_u32 v16, v71, v19, 1                                // 000000006E10: D1FF0010 02062747
	v_cndmask_b32_e64 v5, v16, v18, s[46:47]                   // 000000006E18: D1000005 00BA2510
	v_perm_b32 v63, v5, v4, s52                                // 000000006E20: D1ED003F 00D20905
	v_cmp_u_f32_e64 s[46:47], v72, v72                         // 000000006E28: D048002E 00029148
	v_add3_u32 v16, v72, v19, 1                                // 000000006E30: D1FF0010 02062748
	v_cndmask_b32_e64 v4, v16, v18, s[46:47]                   // 000000006E38: D1000004 00BA2510
	v_cmp_u_f32_e64 s[46:47], v73, v73                         // 000000006E40: D048002E 00029349
	v_add3_u32 v16, v73, v19, 1                                // 000000006E48: D1FF0010 02062749
	v_cndmask_b32_e64 v5, v16, v18, s[46:47]                   // 000000006E50: D1000005 00BA2510
	v_perm_b32 v64, v5, v4, s52                                // 000000006E58: D1ED0040 00D20905
	v_cmp_u_f32_e64 s[46:47], v74, v74                         // 000000006E60: D048002E 0002954A
	v_add3_u32 v16, v74, v19, 1                                // 000000006E68: D1FF0010 0206274A
	v_cndmask_b32_e64 v4, v16, v18, s[46:47]                   // 000000006E70: D1000004 00BA2510
	v_cmp_u_f32_e64 s[46:47], v75, v75                         // 000000006E78: D048002E 0002974B
	v_add3_u32 v16, v75, v19, 1                                // 000000006E80: D1FF0010 0206274B
	v_cndmask_b32_e64 v5, v16, v18, s[46:47]                   // 000000006E88: D1000005 00BA2510
	v_perm_b32 v65, v5, v4, s52                                // 000000006E90: D1ED0041 00D20905
	v_cmp_u_f32_e64 s[46:47], v76, v76                         // 000000006E98: D048002E 0002994C
	v_add3_u32 v16, v76, v19, 1                                // 000000006EA0: D1FF0010 0206274C
	v_cndmask_b32_e64 v4, v16, v18, s[46:47]                   // 000000006EA8: D1000004 00BA2510
	v_cmp_u_f32_e64 s[46:47], v77, v77                         // 000000006EB0: D048002E 00029B4D
	v_add3_u32 v16, v77, v19, 1                                // 000000006EB8: D1FF0010 0206274D
	v_cndmask_b32_e64 v5, v16, v18, s[46:47]                   // 000000006EC0: D1000005 00BA2510
	v_perm_b32 v66, v5, v4, s52                                // 000000006EC8: D1ED0042 00D20905
	v_cmp_u_f32_e64 s[46:47], v78, v78                         // 000000006ED0: D048002E 00029D4E
	v_add3_u32 v16, v78, v19, 1                                // 000000006ED8: D1FF0010 0206274E
	v_cndmask_b32_e64 v4, v16, v18, s[46:47]                   // 000000006EE0: D1000004 00BA2510
	v_cmp_u_f32_e64 s[46:47], v79, v79                         // 000000006EE8: D048002E 00029F4F
	v_add3_u32 v16, v79, v19, 1                                // 000000006EF0: D1FF0010 0206274F
	v_cndmask_b32_e64 v5, v16, v18, s[46:47]                   // 000000006EF8: D1000005 00BA2510
	v_perm_b32 v67, v5, v4, s52                                // 000000006F00: D1ED0043 00D20905
	v_cmp_u_f32_e64 s[46:47], v80, v80                         // 000000006F08: D048002E 0002A150
	v_add3_u32 v16, v80, v19, 1                                // 000000006F10: D1FF0010 02062750
	v_cndmask_b32_e64 v4, v16, v18, s[46:47]                   // 000000006F18: D1000004 00BA2510
	v_cmp_u_f32_e64 s[46:47], v81, v81                         // 000000006F20: D048002E 0002A351
	v_add3_u32 v16, v81, v19, 1                                // 000000006F28: D1FF0010 02062751
	v_cndmask_b32_e64 v5, v16, v18, s[46:47]                   // 000000006F30: D1000005 00BA2510
	v_perm_b32 v68, v5, v4, s52                                // 000000006F38: D1ED0044 00D20905
	v_cmp_u_f32_e64 s[46:47], v82, v82                         // 000000006F40: D048002E 0002A552
	v_add3_u32 v16, v82, v19, 1                                // 000000006F48: D1FF0010 02062752
	v_cndmask_b32_e64 v4, v16, v18, s[46:47]                   // 000000006F50: D1000004 00BA2510
	v_cmp_u_f32_e64 s[46:47], v83, v83                         // 000000006F58: D048002E 0002A753
	v_add3_u32 v16, v83, v19, 1                                // 000000006F60: D1FF0010 02062753
	v_cndmask_b32_e64 v5, v16, v18, s[46:47]                   // 000000006F68: D1000005 00BA2510
	v_perm_b32 v69, v5, v4, s52                                // 000000006F70: D1ED0045 00D20905
	v_cmp_u_f32_e64 s[46:47], v84, v84                         // 000000006F78: D048002E 0002A954
	v_add3_u32 v16, v84, v19, 1                                // 000000006F80: D1FF0010 02062754
	v_cndmask_b32_e64 v4, v16, v18, s[46:47]                   // 000000006F88: D1000004 00BA2510
	v_cmp_u_f32_e64 s[46:47], v85, v85                         // 000000006F90: D048002E 0002AB55
	v_add3_u32 v16, v85, v19, 1                                // 000000006F98: D1FF0010 02062755
	v_cndmask_b32_e64 v5, v16, v18, s[46:47]                   // 000000006FA0: D1000005 00BA2510
	v_perm_b32 v70, v5, v4, s52                                // 000000006FA8: D1ED0046 00D20905
	v_cmp_u_f32_e64 s[46:47], v86, v86                         // 000000006FB0: D048002E 0002AD56
	v_add3_u32 v16, v86, v19, 1                                // 000000006FB8: D1FF0010 02062756
	v_cndmask_b32_e64 v4, v16, v18, s[46:47]                   // 000000006FC0: D1000004 00BA2510
	v_cmp_u_f32_e64 s[46:47], v87, v87                         // 000000006FC8: D048002E 0002AF57
	v_add3_u32 v16, v87, v19, 1                                // 000000006FD0: D1FF0010 02062757
	v_cndmask_b32_e64 v5, v16, v18, s[46:47]                   // 000000006FD8: D1000005 00BA2510
	v_perm_b32 v71, v5, v4, s52                                // 000000006FE0: D1ED0047 00D20905
	v_cmp_u_f32_e64 s[46:47], v88, v88                         // 000000006FE8: D048002E 0002B158
	v_add3_u32 v16, v88, v19, 1                                // 000000006FF0: D1FF0010 02062758
	v_cndmask_b32_e64 v4, v16, v18, s[46:47]                   // 000000006FF8: D1000004 00BA2510
	v_cmp_u_f32_e64 s[46:47], v89, v89                         // 000000007000: D048002E 0002B359
	v_add3_u32 v16, v89, v19, 1                                // 000000007008: D1FF0010 02062759
	v_cndmask_b32_e64 v5, v16, v18, s[46:47]                   // 000000007010: D1000005 00BA2510
	v_perm_b32 v72, v5, v4, s52                                // 000000007018: D1ED0048 00D20905
	v_cmp_u_f32_e64 s[46:47], v90, v90                         // 000000007020: D048002E 0002B55A
	v_add3_u32 v16, v90, v19, 1                                // 000000007028: D1FF0010 0206275A
	v_cndmask_b32_e64 v4, v16, v18, s[46:47]                   // 000000007030: D1000004 00BA2510
	v_cmp_u_f32_e64 s[46:47], v91, v91                         // 000000007038: D048002E 0002B75B
	v_add3_u32 v16, v91, v19, 1                                // 000000007040: D1FF0010 0206275B
	v_cndmask_b32_e64 v5, v16, v18, s[46:47]                   // 000000007048: D1000005 00BA2510
	v_perm_b32 v73, v5, v4, s52                                // 000000007050: D1ED0049 00D20905
	v_cmp_u_f32_e64 s[46:47], v92, v92                         // 000000007058: D048002E 0002B95C
	v_add3_u32 v16, v92, v19, 1                                // 000000007060: D1FF0010 0206275C
	v_cndmask_b32_e64 v4, v16, v18, s[46:47]                   // 000000007068: D1000004 00BA2510
	v_cmp_u_f32_e64 s[46:47], v93, v93                         // 000000007070: D048002E 0002BB5D
	v_add3_u32 v16, v93, v19, 1                                // 000000007078: D1FF0010 0206275D
	v_cndmask_b32_e64 v5, v16, v18, s[46:47]                   // 000000007080: D1000005 00BA2510
	v_perm_b32 v74, v5, v4, s52                                // 000000007088: D1ED004A 00D20905
	v_cmp_u_f32_e64 s[46:47], v94, v94                         // 000000007090: D048002E 0002BD5E
	v_add3_u32 v16, v94, v19, 1                                // 000000007098: D1FF0010 0206275E
	v_cndmask_b32_e64 v4, v16, v18, s[46:47]                   // 0000000070A0: D1000004 00BA2510
	v_cmp_u_f32_e64 s[46:47], v95, v95                         // 0000000070A8: D048002E 0002BF5F
	v_add3_u32 v16, v95, v19, 1                                // 0000000070B0: D1FF0010 0206275F
	v_cndmask_b32_e64 v5, v16, v18, s[46:47]                   // 0000000070B8: D1000005 00BA2510
	v_perm_b32 v75, v5, v4, s52                                // 0000000070C0: D1ED004B 00D20905
	v_cmp_u_f32_e64 s[46:47], v96, v96                         // 0000000070C8: D048002E 0002C160
	v_add3_u32 v16, v96, v19, 1                                // 0000000070D0: D1FF0010 02062760
	v_cndmask_b32_e64 v4, v16, v18, s[46:47]                   // 0000000070D8: D1000004 00BA2510
	v_cmp_u_f32_e64 s[46:47], v97, v97                         // 0000000070E0: D048002E 0002C361
	v_add3_u32 v16, v97, v19, 1                                // 0000000070E8: D1FF0010 02062761
	v_cndmask_b32_e64 v5, v16, v18, s[46:47]                   // 0000000070F0: D1000005 00BA2510
	v_perm_b32 v76, v5, v4, s52                                // 0000000070F8: D1ED004C 00D20905
	v_cmp_u_f32_e64 s[46:47], v98, v98                         // 000000007100: D048002E 0002C562
	v_add3_u32 v16, v98, v19, 1                                // 000000007108: D1FF0010 02062762
	v_cndmask_b32_e64 v4, v16, v18, s[46:47]                   // 000000007110: D1000004 00BA2510
	v_cmp_u_f32_e64 s[46:47], v99, v99                         // 000000007118: D048002E 0002C763
	v_add3_u32 v16, v99, v19, 1                                // 000000007120: D1FF0010 02062763
	v_cndmask_b32_e64 v5, v16, v18, s[46:47]                   // 000000007128: D1000005 00BA2510
	v_perm_b32 v77, v5, v4, s52                                // 000000007130: D1ED004D 00D20905
	v_cmp_u_f32_e64 s[46:47], v100, v100                       // 000000007138: D048002E 0002C964
	v_add3_u32 v16, v100, v19, 1                               // 000000007140: D1FF0010 02062764
	v_cndmask_b32_e64 v4, v16, v18, s[46:47]                   // 000000007148: D1000004 00BA2510
	v_cmp_u_f32_e64 s[46:47], v101, v101                       // 000000007150: D048002E 0002CB65
	v_add3_u32 v16, v101, v19, 1                               // 000000007158: D1FF0010 02062765
	v_cndmask_b32_e64 v5, v16, v18, s[46:47]                   // 000000007160: D1000005 00BA2510
	v_perm_b32 v78, v5, v4, s52                                // 000000007168: D1ED004E 00D20905
	v_cmp_u_f32_e64 s[46:47], v102, v102                       // 000000007170: D048002E 0002CD66
	v_add3_u32 v16, v102, v19, 1                               // 000000007178: D1FF0010 02062766
	v_cndmask_b32_e64 v4, v16, v18, s[46:47]                   // 000000007180: D1000004 00BA2510
	v_cmp_u_f32_e64 s[46:47], v103, v103                       // 000000007188: D048002E 0002CF67
	v_add3_u32 v16, v103, v19, 1                               // 000000007190: D1FF0010 02062767
	v_cndmask_b32_e64 v5, v16, v18, s[46:47]                   // 000000007198: D1000005 00BA2510
	v_perm_b32 v79, v5, v4, s52                                // 0000000071A0: D1ED004F 00D20905
	v_cmp_u_f32_e64 s[46:47], v104, v104                       // 0000000071A8: D048002E 0002D168
	v_add3_u32 v16, v104, v19, 1                               // 0000000071B0: D1FF0010 02062768
	v_cndmask_b32_e64 v4, v16, v18, s[46:47]                   // 0000000071B8: D1000004 00BA2510
	v_cmp_u_f32_e64 s[46:47], v105, v105                       // 0000000071C0: D048002E 0002D369
	v_add3_u32 v16, v105, v19, 1                               // 0000000071C8: D1FF0010 02062769
	v_cndmask_b32_e64 v5, v16, v18, s[46:47]                   // 0000000071D0: D1000005 00BA2510
	v_perm_b32 v80, v5, v4, s52                                // 0000000071D8: D1ED0050 00D20905
	v_cmp_u_f32_e64 s[46:47], v106, v106                       // 0000000071E0: D048002E 0002D56A
	v_add3_u32 v16, v106, v19, 1                               // 0000000071E8: D1FF0010 0206276A
	v_cndmask_b32_e64 v4, v16, v18, s[46:47]                   // 0000000071F0: D1000004 00BA2510
	v_cmp_u_f32_e64 s[46:47], v107, v107                       // 0000000071F8: D048002E 0002D76B
	v_add3_u32 v16, v107, v19, 1                               // 000000007200: D1FF0010 0206276B
	v_cndmask_b32_e64 v5, v16, v18, s[46:47]                   // 000000007208: D1000005 00BA2510
	v_perm_b32 v81, v5, v4, s52                                // 000000007210: D1ED0051 00D20905
	v_cmp_u_f32_e64 s[46:47], v108, v108                       // 000000007218: D048002E 0002D96C
	v_add3_u32 v16, v108, v19, 1                               // 000000007220: D1FF0010 0206276C
	v_cndmask_b32_e64 v4, v16, v18, s[46:47]                   // 000000007228: D1000004 00BA2510
	v_cmp_u_f32_e64 s[46:47], v109, v109                       // 000000007230: D048002E 0002DB6D
	v_add3_u32 v16, v109, v19, 1                               // 000000007238: D1FF0010 0206276D
	v_cndmask_b32_e64 v5, v16, v18, s[46:47]                   // 000000007240: D1000005 00BA2510
	v_perm_b32 v82, v5, v4, s52                                // 000000007248: D1ED0052 00D20905
	v_cmp_u_f32_e64 s[46:47], v110, v110                       // 000000007250: D048002E 0002DD6E
	v_add3_u32 v16, v110, v19, 1                               // 000000007258: D1FF0010 0206276E
	v_cndmask_b32_e64 v4, v16, v18, s[46:47]                   // 000000007260: D1000004 00BA2510
	v_cmp_u_f32_e64 s[46:47], v111, v111                       // 000000007268: D048002E 0002DF6F
	v_add3_u32 v16, v111, v19, 1                               // 000000007270: D1FF0010 0206276F
	v_cndmask_b32_e64 v5, v16, v18, s[46:47]                   // 000000007278: D1000005 00BA2510
	v_perm_b32 v83, v5, v4, s52                                // 000000007280: D1ED0053 00D20905
	v_cmp_u_f32_e64 s[46:47], v112, v112                       // 000000007288: D048002E 0002E170
	v_add3_u32 v16, v112, v19, 1                               // 000000007290: D1FF0010 02062770
	v_cndmask_b32_e64 v4, v16, v18, s[46:47]                   // 000000007298: D1000004 00BA2510
	v_cmp_u_f32_e64 s[46:47], v113, v113                       // 0000000072A0: D048002E 0002E371
	v_add3_u32 v16, v113, v19, 1                               // 0000000072A8: D1FF0010 02062771
	v_cndmask_b32_e64 v5, v16, v18, s[46:47]                   // 0000000072B0: D1000005 00BA2510
	v_perm_b32 v84, v5, v4, s52                                // 0000000072B8: D1ED0054 00D20905
	v_cmp_u_f32_e64 s[46:47], v114, v114                       // 0000000072C0: D048002E 0002E572
	v_add3_u32 v16, v114, v19, 1                               // 0000000072C8: D1FF0010 02062772
	v_cndmask_b32_e64 v4, v16, v18, s[46:47]                   // 0000000072D0: D1000004 00BA2510
	v_cmp_u_f32_e64 s[46:47], v115, v115                       // 0000000072D8: D048002E 0002E773
	v_add3_u32 v16, v115, v19, 1                               // 0000000072E0: D1FF0010 02062773
	v_cndmask_b32_e64 v5, v16, v18, s[46:47]                   // 0000000072E8: D1000005 00BA2510
	v_perm_b32 v85, v5, v4, s52                                // 0000000072F0: D1ED0055 00D20905
	v_cmp_u_f32_e64 s[46:47], v116, v116                       // 0000000072F8: D048002E 0002E974
	v_add3_u32 v16, v116, v19, 1                               // 000000007300: D1FF0010 02062774
	v_cndmask_b32_e64 v4, v16, v18, s[46:47]                   // 000000007308: D1000004 00BA2510
	v_cmp_u_f32_e64 s[46:47], v117, v117                       // 000000007310: D048002E 0002EB75
	v_add3_u32 v16, v117, v19, 1                               // 000000007318: D1FF0010 02062775
	v_cndmask_b32_e64 v5, v16, v18, s[46:47]                   // 000000007320: D1000005 00BA2510
	v_perm_b32 v86, v5, v4, s52                                // 000000007328: D1ED0056 00D20905
	v_cmp_u_f32_e64 s[46:47], v118, v118                       // 000000007330: D048002E 0002ED76
	v_add3_u32 v16, v118, v19, 1                               // 000000007338: D1FF0010 02062776
	v_cndmask_b32_e64 v4, v16, v18, s[46:47]                   // 000000007340: D1000004 00BA2510
	v_cmp_u_f32_e64 s[46:47], v119, v119                       // 000000007348: D048002E 0002EF77
	v_add3_u32 v16, v119, v19, 1                               // 000000007350: D1FF0010 02062777
	v_cndmask_b32_e64 v5, v16, v18, s[46:47]                   // 000000007358: D1000005 00BA2510
	v_perm_b32 v87, v5, v4, s52                                // 000000007360: D1ED0057 00D20905
	v_cmp_u_f32_e64 s[46:47], v120, v120                       // 000000007368: D048002E 0002F178
	v_add3_u32 v16, v120, v19, 1                               // 000000007370: D1FF0010 02062778
	v_cndmask_b32_e64 v4, v16, v18, s[46:47]                   // 000000007378: D1000004 00BA2510
	v_cmp_u_f32_e64 s[46:47], v121, v121                       // 000000007380: D048002E 0002F379
	v_add3_u32 v16, v121, v19, 1                               // 000000007388: D1FF0010 02062779
	v_cndmask_b32_e64 v5, v16, v18, s[46:47]                   // 000000007390: D1000005 00BA2510
	v_perm_b32 v88, v5, v4, s52                                // 000000007398: D1ED0058 00D20905
	v_cmp_u_f32_e64 s[46:47], v122, v122                       // 0000000073A0: D048002E 0002F57A
	v_add3_u32 v16, v122, v19, 1                               // 0000000073A8: D1FF0010 0206277A
	v_cndmask_b32_e64 v4, v16, v18, s[46:47]                   // 0000000073B0: D1000004 00BA2510
	v_cmp_u_f32_e64 s[46:47], v123, v123                       // 0000000073B8: D048002E 0002F77B
	v_add3_u32 v16, v123, v19, 1                               // 0000000073C0: D1FF0010 0206277B
	v_cndmask_b32_e64 v5, v16, v18, s[46:47]                   // 0000000073C8: D1000005 00BA2510
	v_perm_b32 v89, v5, v4, s52                                // 0000000073D0: D1ED0059 00D20905
	v_cmp_u_f32_e64 s[46:47], v124, v124                       // 0000000073D8: D048002E 0002F97C
	v_add3_u32 v16, v124, v19, 1                               // 0000000073E0: D1FF0010 0206277C
	v_cndmask_b32_e64 v4, v16, v18, s[46:47]                   // 0000000073E8: D1000004 00BA2510
	v_cmp_u_f32_e64 s[46:47], v125, v125                       // 0000000073F0: D048002E 0002FB7D
	v_add3_u32 v16, v125, v19, 1                               // 0000000073F8: D1FF0010 0206277D
	v_cndmask_b32_e64 v5, v16, v18, s[46:47]                   // 000000007400: D1000005 00BA2510
	v_perm_b32 v90, v5, v4, s52                                // 000000007408: D1ED005A 00D20905
	v_cmp_u_f32_e64 s[46:47], v126, v126                       // 000000007410: D048002E 0002FD7E
	v_add3_u32 v16, v126, v19, 1                               // 000000007418: D1FF0010 0206277E
	v_cndmask_b32_e64 v4, v16, v18, s[46:47]                   // 000000007420: D1000004 00BA2510
	v_cmp_u_f32_e64 s[46:47], v127, v127                       // 000000007428: D048002E 0002FF7F
	v_add3_u32 v16, v127, v19, 1                               // 000000007430: D1FF0010 0206277F
	v_cndmask_b32_e64 v5, v16, v18, s[46:47]                   // 000000007438: D1000005 00BA2510
	v_perm_b32 v91, v5, v4, s52                                // 000000007440: D1ED005B 00D20905
	v_cmp_u_f32_e64 s[46:47], v128, v128                       // 000000007448: D048002E 00030180
	v_add3_u32 v16, v128, v19, 1                               // 000000007450: D1FF0010 02062780
	v_cndmask_b32_e64 v4, v16, v18, s[46:47]                   // 000000007458: D1000004 00BA2510
	v_cmp_u_f32_e64 s[46:47], v129, v129                       // 000000007460: D048002E 00030381
	v_add3_u32 v16, v129, v19, 1                               // 000000007468: D1FF0010 02062781
	v_cndmask_b32_e64 v5, v16, v18, s[46:47]                   // 000000007470: D1000005 00BA2510
	v_perm_b32 v92, v5, v4, s52                                // 000000007478: D1ED005C 00D20905
	v_cmp_u_f32_e64 s[46:47], v130, v130                       // 000000007480: D048002E 00030582
	v_add3_u32 v16, v130, v19, 1                               // 000000007488: D1FF0010 02062782
	v_cndmask_b32_e64 v4, v16, v18, s[46:47]                   // 000000007490: D1000004 00BA2510
	v_cmp_u_f32_e64 s[46:47], v131, v131                       // 000000007498: D048002E 00030783
	v_add3_u32 v16, v131, v19, 1                               // 0000000074A0: D1FF0010 02062783
	v_cndmask_b32_e64 v5, v16, v18, s[46:47]                   // 0000000074A8: D1000005 00BA2510
	v_perm_b32 v93, v5, v4, s52                                // 0000000074B0: D1ED005D 00D20905
	v_cmp_u_f32_e64 s[46:47], v132, v132                       // 0000000074B8: D048002E 00030984
	v_add3_u32 v16, v132, v19, 1                               // 0000000074C0: D1FF0010 02062784
	v_cndmask_b32_e64 v4, v16, v18, s[46:47]                   // 0000000074C8: D1000004 00BA2510
	v_cmp_u_f32_e64 s[46:47], v133, v133                       // 0000000074D0: D048002E 00030B85
	v_add3_u32 v16, v133, v19, 1                               // 0000000074D8: D1FF0010 02062785
	v_cndmask_b32_e64 v5, v16, v18, s[46:47]                   // 0000000074E0: D1000005 00BA2510
	v_perm_b32 v94, v5, v4, s52                                // 0000000074E8: D1ED005E 00D20905
	v_cmp_u_f32_e64 s[46:47], v134, v134                       // 0000000074F0: D048002E 00030D86
	v_add3_u32 v16, v134, v19, 1                               // 0000000074F8: D1FF0010 02062786
	v_cndmask_b32_e64 v4, v16, v18, s[46:47]                   // 000000007500: D1000004 00BA2510
	v_cmp_u_f32_e64 s[46:47], v135, v135                       // 000000007508: D048002E 00030F87
	v_add3_u32 v16, v135, v19, 1                               // 000000007510: D1FF0010 02062787
	v_cndmask_b32_e64 v5, v16, v18, s[46:47]                   // 000000007518: D1000005 00BA2510
	v_perm_b32 v95, v5, v4, s52                                // 000000007520: D1ED005F 00D20905
	v_cmp_u_f32_e64 s[46:47], v136, v136                       // 000000007528: D048002E 00031188
	v_add3_u32 v16, v136, v19, 1                               // 000000007530: D1FF0010 02062788
	v_cndmask_b32_e64 v4, v16, v18, s[46:47]                   // 000000007538: D1000004 00BA2510
	v_cmp_u_f32_e64 s[46:47], v137, v137                       // 000000007540: D048002E 00031389
	v_add3_u32 v16, v137, v19, 1                               // 000000007548: D1FF0010 02062789
	v_cndmask_b32_e64 v5, v16, v18, s[46:47]                   // 000000007550: D1000005 00BA2510
	v_perm_b32 v96, v5, v4, s52                                // 000000007558: D1ED0060 00D20905
	v_cmp_u_f32_e64 s[46:47], v138, v138                       // 000000007560: D048002E 0003158A
	v_add3_u32 v16, v138, v19, 1                               // 000000007568: D1FF0010 0206278A
	v_cndmask_b32_e64 v4, v16, v18, s[46:47]                   // 000000007570: D1000004 00BA2510
	v_cmp_u_f32_e64 s[46:47], v139, v139                       // 000000007578: D048002E 0003178B
	v_add3_u32 v16, v139, v19, 1                               // 000000007580: D1FF0010 0206278B
	v_cndmask_b32_e64 v5, v16, v18, s[46:47]                   // 000000007588: D1000005 00BA2510
	v_perm_b32 v97, v5, v4, s52                                // 000000007590: D1ED0061 00D20905
	v_cmp_u_f32_e64 s[46:47], v140, v140                       // 000000007598: D048002E 0003198C
	v_add3_u32 v16, v140, v19, 1                               // 0000000075A0: D1FF0010 0206278C
	v_cndmask_b32_e64 v4, v16, v18, s[46:47]                   // 0000000075A8: D1000004 00BA2510
	v_cmp_u_f32_e64 s[46:47], v141, v141                       // 0000000075B0: D048002E 00031B8D
	v_add3_u32 v16, v141, v19, 1                               // 0000000075B8: D1FF0010 0206278D
	v_cndmask_b32_e64 v5, v16, v18, s[46:47]                   // 0000000075C0: D1000005 00BA2510
	v_perm_b32 v98, v5, v4, s52                                // 0000000075C8: D1ED0062 00D20905
	v_cmp_u_f32_e64 s[46:47], v142, v142                       // 0000000075D0: D048002E 00031D8E
	v_add3_u32 v16, v142, v19, 1                               // 0000000075D8: D1FF0010 0206278E
	v_cndmask_b32_e64 v4, v16, v18, s[46:47]                   // 0000000075E0: D1000004 00BA2510
	v_cmp_u_f32_e64 s[46:47], v143, v143                       // 0000000075E8: D048002E 00031F8F
	v_add3_u32 v16, v143, v19, 1                               // 0000000075F0: D1FF0010 0206278F
	v_cndmask_b32_e64 v5, v16, v18, s[46:47]                   // 0000000075F8: D1000005 00BA2510
	v_perm_b32 v99, v5, v4, s52                                // 000000007600: D1ED0063 00D20905
	v_cmp_u_f32_e64 s[46:47], v144, v144                       // 000000007608: D048002E 00032190
	v_add3_u32 v16, v144, v19, 1                               // 000000007610: D1FF0010 02062790
	v_cndmask_b32_e64 v4, v16, v18, s[46:47]                   // 000000007618: D1000004 00BA2510
	v_cmp_u_f32_e64 s[46:47], v145, v145                       // 000000007620: D048002E 00032391
	v_add3_u32 v16, v145, v19, 1                               // 000000007628: D1FF0010 02062791
	v_cndmask_b32_e64 v5, v16, v18, s[46:47]                   // 000000007630: D1000005 00BA2510
	v_perm_b32 v100, v5, v4, s52                               // 000000007638: D1ED0064 00D20905
	v_cmp_u_f32_e64 s[46:47], v146, v146                       // 000000007640: D048002E 00032592
	v_add3_u32 v16, v146, v19, 1                               // 000000007648: D1FF0010 02062792
	v_cndmask_b32_e64 v4, v16, v18, s[46:47]                   // 000000007650: D1000004 00BA2510
	v_cmp_u_f32_e64 s[46:47], v147, v147                       // 000000007658: D048002E 00032793
	v_add3_u32 v16, v147, v19, 1                               // 000000007660: D1FF0010 02062793
	v_cndmask_b32_e64 v5, v16, v18, s[46:47]                   // 000000007668: D1000005 00BA2510
	v_perm_b32 v101, v5, v4, s52                               // 000000007670: D1ED0065 00D20905
	v_cmp_u_f32_e64 s[46:47], v148, v148                       // 000000007678: D048002E 00032994
	v_add3_u32 v16, v148, v19, 1                               // 000000007680: D1FF0010 02062794
	v_cndmask_b32_e64 v4, v16, v18, s[46:47]                   // 000000007688: D1000004 00BA2510
	v_cmp_u_f32_e64 s[46:47], v149, v149                       // 000000007690: D048002E 00032B95
	v_add3_u32 v16, v149, v19, 1                               // 000000007698: D1FF0010 02062795
	v_cndmask_b32_e64 v5, v16, v18, s[46:47]                   // 0000000076A0: D1000005 00BA2510
	v_perm_b32 v102, v5, v4, s52                               // 0000000076A8: D1ED0066 00D20905
	v_cmp_u_f32_e64 s[46:47], v150, v150                       // 0000000076B0: D048002E 00032D96
	v_add3_u32 v16, v150, v19, 1                               // 0000000076B8: D1FF0010 02062796
	v_cndmask_b32_e64 v4, v16, v18, s[46:47]                   // 0000000076C0: D1000004 00BA2510
	v_cmp_u_f32_e64 s[46:47], v151, v151                       // 0000000076C8: D048002E 00032F97
	v_add3_u32 v16, v151, v19, 1                               // 0000000076D0: D1FF0010 02062797
	v_cndmask_b32_e64 v5, v16, v18, s[46:47]                   // 0000000076D8: D1000005 00BA2510
	v_perm_b32 v103, v5, v4, s52                               // 0000000076E0: D1ED0067 00D20905
	ds_write_b64 v20, v[56:57]                                 // 0000000076E8: D89A0000 00003814
	ds_write_b64 v20, v[58:59] offset:17408                    // 0000000076F0: D89A4400 00003A14
	ds_write_b64 v20, v[60:61] offset:34816                    // 0000000076F8: D89A8800 00003C14
	ds_write_b64 v20, v[62:63] offset:2176                     // 000000007700: D89A0880 00003E14
	ds_write_b64 v20, v[64:65] offset:19584                    // 000000007708: D89A4C80 00004014
	ds_write_b64 v20, v[66:67] offset:36992                    // 000000007710: D89A9080 00004214
	ds_write_b64 v20, v[68:69] offset:4352                     // 000000007718: D89A1100 00004414
	ds_write_b64 v20, v[70:71] offset:21760                    // 000000007720: D89A5500 00004614
	ds_write_b64 v20, v[72:73] offset:39168                    // 000000007728: D89A9900 00004814
	ds_write_b64 v20, v[74:75] offset:6528                     // 000000007730: D89A1980 00004A14
	ds_write_b64 v20, v[76:77] offset:23936                    // 000000007738: D89A5D80 00004C14
	ds_write_b64 v20, v[78:79] offset:41344                    // 000000007740: D89AA180 00004E14
	ds_write_b64 v20, v[80:81] offset:8704                     // 000000007748: D89A2200 00005014
	ds_write_b64 v20, v[82:83] offset:26112                    // 000000007750: D89A6600 00005214
	ds_write_b64 v20, v[84:85] offset:43520                    // 000000007758: D89AAA00 00005414
	ds_write_b64 v20, v[86:87] offset:10880                    // 000000007760: D89A2A80 00005614
	ds_write_b64 v20, v[88:89] offset:28288                    // 000000007768: D89A6E80 00005814
	ds_write_b64 v20, v[90:91] offset:45696                    // 000000007770: D89AB280 00005A14
	ds_write_b64 v20, v[92:93] offset:13056                    // 000000007778: D89A3300 00005C14
	ds_write_b64 v20, v[94:95] offset:30464                    // 000000007780: D89A7700 00005E14
	ds_write_b64 v20, v[96:97] offset:47872                    // 000000007788: D89ABB00 00006014
	ds_write_b64 v20, v[98:99] offset:15232                    // 000000007790: D89A3B80 00006214
	ds_write_b64 v20, v[100:101] offset:32640                  // 000000007798: D89A7F80 00006414
	ds_write_b64 v20, v[102:103] offset:50048                  // 0000000077A0: D89AC380 00006614
	v_lshrrev_b32_e32 v4, 5, v0                                // 0000000077A8: 20080085
	v_xor_b32_e32 v5, 1, v4                                    // 0000000077AC: 2A0A0881
	s_mul_i32 s60, s65, 2                                      // 0000000077B0: 923C8241
	s_cmp_eq_u32 s88, 0                                        // 0000000077B4: BF068058
	s_cselect_b32 s61, 1, 4                                    // 0000000077B8: 853D8481
	s_mul_i32 s60, s61, s60                                    // 0000000077BC: 923C3C3D
	v_readlane_b32 s82, v3, 0                                  // 0000000077C0: D2890052 00010103
	s_lshr_b32 s61, s82, 24                                    // 0000000077C8: 8F3D9852
	s_and_b32 s82, s82, 0xffffff                               // 0000000077CC: 8652FF52 00FFFFFF
	s_mul_i32 s82, s82, s71                                    // 0000000077D4: 92524752
	s_mul_i32 s61, s60, s61                                    // 0000000077D8: 923D3D3C
	s_add_u32 s82, s82, s61                                    // 0000000077DC: 80523D52
	v_mul_lo_u32 v6, v5, s82                                   // 0000000077E0: D2850006 0000A505
	v_readlane_b32 s82, v3, 1                                  // 0000000077E8: D2890052 00010303
	s_lshr_b32 s61, s82, 24                                    // 0000000077F0: 8F3D9852
	s_and_b32 s82, s82, 0xffffff                               // 0000000077F4: 8652FF52 00FFFFFF
	s_mul_i32 s82, s82, s71                                    // 0000000077FC: 92524752
	s_mul_i32 s61, s60, s61                                    // 000000007800: 923D3D3C
	s_add_u32 s82, s82, s61                                    // 000000007804: 80523D52
	v_mul_lo_u32 v7, v4, s82                                   // 000000007808: D2850007 0000A504
	v_add_u32_e32 v41, v6, v7                                  // 000000007810: 68520F06
	v_readlane_b32 s82, v3, 2                                  // 000000007814: D2890052 00010503
	s_lshr_b32 s61, s82, 24                                    // 00000000781C: 8F3D9852
	s_and_b32 s82, s82, 0xffffff                               // 000000007820: 8652FF52 00FFFFFF
	s_mul_i32 s82, s82, s71                                    // 000000007828: 92524752
	s_mul_i32 s61, s60, s61                                    // 00000000782C: 923D3D3C
	s_add_u32 s82, s82, s61                                    // 000000007830: 80523D52
	v_mul_lo_u32 v6, v5, s82                                   // 000000007834: D2850006 0000A505
	v_readlane_b32 s82, v3, 3                                  // 00000000783C: D2890052 00010703
	s_lshr_b32 s61, s82, 24                                    // 000000007844: 8F3D9852
	s_and_b32 s82, s82, 0xffffff                               // 000000007848: 8652FF52 00FFFFFF
	s_mul_i32 s82, s82, s71                                    // 000000007850: 92524752
	s_mul_i32 s61, s60, s61                                    // 000000007854: 923D3D3C
	s_add_u32 s82, s82, s61                                    // 000000007858: 80523D52
	v_mul_lo_u32 v7, v4, s82                                   // 00000000785C: D2850007 0000A504
	v_add_u32_e32 v42, v6, v7                                  // 000000007864: 68540F06
	v_readlane_b32 s82, v3, 4                                  // 000000007868: D2890052 00010903
	s_lshr_b32 s61, s82, 24                                    // 000000007870: 8F3D9852
	s_and_b32 s82, s82, 0xffffff                               // 000000007874: 8652FF52 00FFFFFF
	s_mul_i32 s82, s82, s71                                    // 00000000787C: 92524752
	s_mul_i32 s61, s60, s61                                    // 000000007880: 923D3D3C
	s_add_u32 s82, s82, s61                                    // 000000007884: 80523D52
	v_mul_lo_u32 v6, v5, s82                                   // 000000007888: D2850006 0000A505
	v_readlane_b32 s82, v3, 5                                  // 000000007890: D2890052 00010B03
	s_lshr_b32 s61, s82, 24                                    // 000000007898: 8F3D9852
	s_and_b32 s82, s82, 0xffffff                               // 00000000789C: 8652FF52 00FFFFFF
	s_mul_i32 s82, s82, s71                                    // 0000000078A4: 92524752
	s_mul_i32 s61, s60, s61                                    // 0000000078A8: 923D3D3C
	s_add_u32 s82, s82, s61                                    // 0000000078AC: 80523D52
	v_mul_lo_u32 v7, v4, s82                                   // 0000000078B0: D2850007 0000A504
	v_add_u32_e32 v43, v6, v7                                  // 0000000078B8: 68560F06
	v_readlane_b32 s82, v3, 6                                  // 0000000078BC: D2890052 00010D03
	s_lshr_b32 s61, s82, 24                                    // 0000000078C4: 8F3D9852
	s_and_b32 s82, s82, 0xffffff                               // 0000000078C8: 8652FF52 00FFFFFF
	s_mul_i32 s82, s82, s71                                    // 0000000078D0: 92524752
	s_mul_i32 s61, s60, s61                                    // 0000000078D4: 923D3D3C
	s_add_u32 s82, s82, s61                                    // 0000000078D8: 80523D52
	v_mul_lo_u32 v6, v5, s82                                   // 0000000078DC: D2850006 0000A505
	v_readlane_b32 s82, v3, 7                                  // 0000000078E4: D2890052 00010F03
	s_lshr_b32 s61, s82, 24                                    // 0000000078EC: 8F3D9852
	s_and_b32 s82, s82, 0xffffff                               // 0000000078F0: 8652FF52 00FFFFFF
	s_mul_i32 s82, s82, s71                                    // 0000000078F8: 92524752
	s_mul_i32 s61, s60, s61                                    // 0000000078FC: 923D3D3C
	s_add_u32 s82, s82, s61                                    // 000000007900: 80523D52
	v_mul_lo_u32 v7, v4, s82                                   // 000000007904: D2850007 0000A504
	v_add_u32_e32 v44, v6, v7                                  // 00000000790C: 68580F06
	v_readlane_b32 s82, v3, 8                                  // 000000007910: D2890052 00011103
	s_lshr_b32 s61, s82, 24                                    // 000000007918: 8F3D9852
	s_and_b32 s82, s82, 0xffffff                               // 00000000791C: 8652FF52 00FFFFFF
	s_mul_i32 s82, s82, s71                                    // 000000007924: 92524752
	s_mul_i32 s61, s60, s61                                    // 000000007928: 923D3D3C
	s_add_u32 s82, s82, s61                                    // 00000000792C: 80523D52
	v_mul_lo_u32 v6, v5, s82                                   // 000000007930: D2850006 0000A505
	v_readlane_b32 s82, v3, 9                                  // 000000007938: D2890052 00011303
	s_lshr_b32 s61, s82, 24                                    // 000000007940: 8F3D9852
	s_and_b32 s82, s82, 0xffffff                               // 000000007944: 8652FF52 00FFFFFF
	s_mul_i32 s82, s82, s71                                    // 00000000794C: 92524752
	s_mul_i32 s61, s60, s61                                    // 000000007950: 923D3D3C
	s_add_u32 s82, s82, s61                                    // 000000007954: 80523D52
	v_mul_lo_u32 v7, v4, s82                                   // 000000007958: D2850007 0000A504
	v_add_u32_e32 v45, v6, v7                                  // 000000007960: 685A0F06
	v_readlane_b32 s82, v3, 10                                 // 000000007964: D2890052 00011503
	s_lshr_b32 s61, s82, 24                                    // 00000000796C: 8F3D9852
	s_and_b32 s82, s82, 0xffffff                               // 000000007970: 8652FF52 00FFFFFF
	s_mul_i32 s82, s82, s71                                    // 000000007978: 92524752
	s_mul_i32 s61, s60, s61                                    // 00000000797C: 923D3D3C
	s_add_u32 s82, s82, s61                                    // 000000007980: 80523D52
	v_mul_lo_u32 v6, v5, s82                                   // 000000007984: D2850006 0000A505
	v_readlane_b32 s82, v3, 11                                 // 00000000798C: D2890052 00011703
	s_lshr_b32 s61, s82, 24                                    // 000000007994: 8F3D9852
	s_and_b32 s82, s82, 0xffffff                               // 000000007998: 8652FF52 00FFFFFF
	s_mul_i32 s82, s82, s71                                    // 0000000079A0: 92524752
	s_mul_i32 s61, s60, s61                                    // 0000000079A4: 923D3D3C
	s_add_u32 s82, s82, s61                                    // 0000000079A8: 80523D52
	v_mul_lo_u32 v7, v4, s82                                   // 0000000079AC: D2850007 0000A504
	v_add_u32_e32 v46, v6, v7                                  // 0000000079B4: 685C0F06
	v_and_b32_e32 v4, 31, v0                                   // 0000000079B8: 2608009F
	v_lshrrev_b32_e32 v4, 1, v4                                // 0000000079BC: 20080881
	s_cmp_eq_u32 s88, 0                                        // 0000000079C0: BF068058
	s_cselect_b32 s61, 2, 4                                    // 0000000079C4: 853D8482
	v_mul_lo_u32 v4, v4, s61                                   // 0000000079C8: D2850004 00007B04
	v_and_b32_e64 v5, v0, 1                                    // 0000000079D0: D1130005 00010300
	v_add_u32_e32 v4, v4, v5                                   // 0000000079D8: 68080B04
	v_lshlrev_b32_e32 v4, 2, v4                                // 0000000079DC: 24080882
	v_add_u32_e32 v41, v41, v4                                 // 0000000079E0: 68520929
	v_add_u32_e32 v42, v42, v4                                 // 0000000079E4: 6854092A
	v_add_u32_e32 v43, v43, v4                                 // 0000000079E8: 6856092B
	v_add_u32_e32 v44, v44, v4                                 // 0000000079EC: 6858092C
	v_add_u32_e32 v45, v45, v4                                 // 0000000079F0: 685A092D
	v_add_u32_e32 v46, v46, v4                                 // 0000000079F4: 685C092E
	s_waitcnt lgkmcnt(0)                                       // 0000000079F8: BF8CC07F
	s_barrier                                                  // 0000000079FC: BF8A0000
	ds_read_b32 v56, v21                                       // 000000007A00: D86C0000 38000015
	ds_read_b32 v57, v21 offset:64                             // 000000007A08: D86C0040 39000015
	ds_read_b32 v58, v21 offset:2176                           // 000000007A10: D86C0880 3A000015
	ds_read_b32 v59, v21 offset:2240                           // 000000007A18: D86C08C0 3B000015
	ds_read_b32 v60, v21 offset:4352                           // 000000007A20: D86C1100 3C000015
	ds_read_b32 v61, v21 offset:4416                           // 000000007A28: D86C1140 3D000015
	ds_read_b32 v62, v21 offset:6528                           // 000000007A30: D86C1980 3E000015
	ds_read_b32 v63, v21 offset:6592                           // 000000007A38: D86C19C0 3F000015
	ds_read_b32 v64, v21 offset:8704                           // 000000007A40: D86C2200 40000015
	ds_read_b32 v65, v21 offset:8768                           // 000000007A48: D86C2240 41000015
	ds_read_b32 v66, v21 offset:10880                          // 000000007A50: D86C2A80 42000015
	ds_read_b32 v67, v21 offset:10944                          // 000000007A58: D86C2AC0 43000015
	ds_read_b32 v68, v21 offset:13056                          // 000000007A60: D86C3300 44000015
	ds_read_b32 v69, v21 offset:13120                          // 000000007A68: D86C3340 45000015
	ds_read_b32 v70, v21 offset:15232                          // 000000007A70: D86C3B80 46000015
	ds_read_b32 v71, v21 offset:15296                          // 000000007A78: D86C3BC0 47000015
	ds_read_b32 v72, v21 offset:17408                          // 000000007A80: D86C4400 48000015
	ds_read_b32 v73, v21 offset:17472                          // 000000007A88: D86C4440 49000015
	ds_read_b32 v74, v21 offset:19584                          // 000000007A90: D86C4C80 4A000015
	ds_read_b32 v75, v21 offset:19648                          // 000000007A98: D86C4CC0 4B000015
	ds_read_b32 v76, v21 offset:21760                          // 000000007AA0: D86C5500 4C000015
	ds_read_b32 v77, v21 offset:21824                          // 000000007AA8: D86C5540 4D000015
	ds_read_b32 v78, v21 offset:23936                          // 000000007AB0: D86C5D80 4E000015
	ds_read_b32 v79, v21 offset:24000                          // 000000007AB8: D86C5DC0 4F000015
	ds_read_b32 v80, v21 offset:26112                          // 000000007AC0: D86C6600 50000015
	ds_read_b32 v81, v21 offset:26176                          // 000000007AC8: D86C6640 51000015
	ds_read_b32 v82, v21 offset:28288                          // 000000007AD0: D86C6E80 52000015
	ds_read_b32 v83, v21 offset:28352                          // 000000007AD8: D86C6EC0 53000015
	ds_read_b32 v84, v21 offset:30464                          // 000000007AE0: D86C7700 54000015
	ds_read_b32 v85, v21 offset:30528                          // 000000007AE8: D86C7740 55000015
	ds_read_b32 v86, v21 offset:32640                          // 000000007AF0: D86C7F80 56000015
	ds_read_b32 v87, v21 offset:32704                          // 000000007AF8: D86C7FC0 57000015
	ds_read_b32 v88, v21 offset:34816                          // 000000007B00: D86C8800 58000015
	ds_read_b32 v89, v21 offset:34880                          // 000000007B08: D86C8840 59000015
	ds_read_b32 v90, v21 offset:36992                          // 000000007B10: D86C9080 5A000015
	ds_read_b32 v91, v21 offset:37056                          // 000000007B18: D86C90C0 5B000015
	ds_read_b32 v92, v21 offset:39168                          // 000000007B20: D86C9900 5C000015
	ds_read_b32 v93, v21 offset:39232                          // 000000007B28: D86C9940 5D000015
	ds_read_b32 v94, v21 offset:41344                          // 000000007B30: D86CA180 5E000015
	ds_read_b32 v95, v21 offset:41408                          // 000000007B38: D86CA1C0 5F000015
	ds_read_b32 v96, v21 offset:43520                          // 000000007B40: D86CAA00 60000015
	ds_read_b32 v97, v21 offset:43584                          // 000000007B48: D86CAA40 61000015
	ds_read_b32 v98, v21 offset:45696                          // 000000007B50: D86CB280 62000015
	ds_read_b32 v99, v21 offset:45760                          // 000000007B58: D86CB2C0 63000015
	ds_read_b32 v100, v21 offset:47872                         // 000000007B60: D86CBB00 64000015
	ds_read_b32 v101, v21 offset:47936                         // 000000007B68: D86CBB40 65000015
	ds_read_b32 v102, v21 offset:50048                         // 000000007B70: D86CC380 66000015
	ds_read_b32 v103, v21 offset:50112                         // 000000007B78: D86CC3C0 67000015
	s_waitcnt lgkmcnt(0)                                       // 000000007B80: BF8CC07F
	s_mov_b32 s36, -1                                          // 000000007B84: BEA400C1
	s_mov_b32 s37, -1                                          // 000000007B88: BEA500C1
	v_mov_b32_e32 v7, 0                                        // 000000007B8C: 7E0E0280
	s_or_b32 s9, s9, 0x40000                                   // 000000007B90: 8709FF09 00040000
	s_mov_b64 exec, s[36:37]                                   // 000000007B98: BEFE0124
	v_mov_b32_e32 v6, v41                                      // 000000007B9C: 7E0C0329
	s_mov_b64 s[60:61], 0                                      // 000000007BA0: BEBC0180
	v_readlane_b32 s82, v3, 0                                  // 000000007BA4: D2890052 00010103
	s_and_b32 s82, s82, 0xffffff                               // 000000007BAC: 8652FF52 00FFFFFF
	s_cmp_lt_u32 s82, s66                                      // 000000007BB4: BF0A4252
	s_cselect_b32 s20, s36, s60                                // 000000007BB8: 85143C24
	v_readlane_b32 s82, v3, 1                                  // 000000007BBC: D2890052 00010303
	s_and_b32 s82, s82, 0xffffff                               // 000000007BC4: 8652FF52 00FFFFFF
	s_cmp_lt_u32 s82, s66                                      // 000000007BCC: BF0A4252
	s_cselect_b32 s21, s36, s60                                // 000000007BD0: 85153C24
	s_mov_b64 exec, s[20:21]                                   // 000000007BD4: BEFE0114
	buffer_store_dword v56, v6, s[8:11], 0 offen               // 000000007BD8: E0701000 80023806
	buffer_store_dword v58, v6, s[8:11], 0 offen offset:128    // 000000007BE0: E0701080 80023A06
	buffer_store_dword v60, v6, s[8:11], 0 offen offset:256    // 000000007BE8: E0701100 80023C06
	buffer_store_dword v62, v6, s[8:11], 0 offen offset:384    // 000000007BF0: E0701180 80023E06
	buffer_store_dword v64, v6, s[8:11], 0 offen offset:512    // 000000007BF8: E0701200 80024006
	buffer_store_dword v66, v6, s[8:11], 0 offen offset:640    // 000000007C00: E0701280 80024206
	buffer_store_dword v68, v6, s[8:11], 0 offen offset:768    // 000000007C08: E0701300 80024406
	buffer_store_dword v70, v6, s[8:11], 0 offen offset:896    // 000000007C10: E0701380 80024606
	s_mov_b64 exec, s[36:37]                                   // 000000007C18: BEFE0124
	v_mov_b32_e32 v6, v42                                      // 000000007C1C: 7E0C032A
	s_mov_b64 s[60:61], 0                                      // 000000007C20: BEBC0180
	v_readlane_b32 s82, v3, 2                                  // 000000007C24: D2890052 00010503
	s_and_b32 s82, s82, 0xffffff                               // 000000007C2C: 8652FF52 00FFFFFF
	s_cmp_lt_u32 s82, s66                                      // 000000007C34: BF0A4252
	s_cselect_b32 s20, s36, s60                                // 000000007C38: 85143C24
	v_readlane_b32 s82, v3, 3                                  // 000000007C3C: D2890052 00010703
	s_and_b32 s82, s82, 0xffffff                               // 000000007C44: 8652FF52 00FFFFFF
	s_cmp_lt_u32 s82, s66                                      // 000000007C4C: BF0A4252
	s_cselect_b32 s21, s36, s60                                // 000000007C50: 85153C24
	s_mov_b64 exec, s[20:21]                                   // 000000007C54: BEFE0114
	buffer_store_dword v57, v6, s[8:11], 0 offen               // 000000007C58: E0701000 80023906
	buffer_store_dword v59, v6, s[8:11], 0 offen offset:128    // 000000007C60: E0701080 80023B06
	buffer_store_dword v61, v6, s[8:11], 0 offen offset:256    // 000000007C68: E0701100 80023D06
	buffer_store_dword v63, v6, s[8:11], 0 offen offset:384    // 000000007C70: E0701180 80023F06
	buffer_store_dword v65, v6, s[8:11], 0 offen offset:512    // 000000007C78: E0701200 80024106
	buffer_store_dword v67, v6, s[8:11], 0 offen offset:640    // 000000007C80: E0701280 80024306
	buffer_store_dword v69, v6, s[8:11], 0 offen offset:768    // 000000007C88: E0701300 80024506
	buffer_store_dword v71, v6, s[8:11], 0 offen offset:896    // 000000007C90: E0701380 80024706
	s_mov_b64 exec, s[36:37]                                   // 000000007C98: BEFE0124
	v_mov_b32_e32 v6, v43                                      // 000000007C9C: 7E0C032B
	s_mov_b64 s[60:61], 0                                      // 000000007CA0: BEBC0180
	v_readlane_b32 s82, v3, 4                                  // 000000007CA4: D2890052 00010903
	s_and_b32 s82, s82, 0xffffff                               // 000000007CAC: 8652FF52 00FFFFFF
	s_cmp_lt_u32 s82, s66                                      // 000000007CB4: BF0A4252
	s_cselect_b32 s20, s36, s60                                // 000000007CB8: 85143C24
	v_readlane_b32 s82, v3, 5                                  // 000000007CBC: D2890052 00010B03
	s_and_b32 s82, s82, 0xffffff                               // 000000007CC4: 8652FF52 00FFFFFF
	s_cmp_lt_u32 s82, s66                                      // 000000007CCC: BF0A4252
	s_cselect_b32 s21, s36, s60                                // 000000007CD0: 85153C24
	s_mov_b64 exec, s[20:21]                                   // 000000007CD4: BEFE0114
	buffer_store_dword v72, v6, s[8:11], 0 offen               // 000000007CD8: E0701000 80024806
	buffer_store_dword v74, v6, s[8:11], 0 offen offset:128    // 000000007CE0: E0701080 80024A06
	buffer_store_dword v76, v6, s[8:11], 0 offen offset:256    // 000000007CE8: E0701100 80024C06
	buffer_store_dword v78, v6, s[8:11], 0 offen offset:384    // 000000007CF0: E0701180 80024E06
	buffer_store_dword v80, v6, s[8:11], 0 offen offset:512    // 000000007CF8: E0701200 80025006
	buffer_store_dword v82, v6, s[8:11], 0 offen offset:640    // 000000007D00: E0701280 80025206
	buffer_store_dword v84, v6, s[8:11], 0 offen offset:768    // 000000007D08: E0701300 80025406
	buffer_store_dword v86, v6, s[8:11], 0 offen offset:896    // 000000007D10: E0701380 80025606
	s_mov_b64 exec, s[36:37]                                   // 000000007D18: BEFE0124
	v_mov_b32_e32 v6, v44                                      // 000000007D1C: 7E0C032C
	s_mov_b64 s[60:61], 0                                      // 000000007D20: BEBC0180
	v_readlane_b32 s82, v3, 6                                  // 000000007D24: D2890052 00010D03
	s_and_b32 s82, s82, 0xffffff                               // 000000007D2C: 8652FF52 00FFFFFF
	s_cmp_lt_u32 s82, s66                                      // 000000007D34: BF0A4252
	s_cselect_b32 s20, s36, s60                                // 000000007D38: 85143C24
	v_readlane_b32 s82, v3, 7                                  // 000000007D3C: D2890052 00010F03
	s_and_b32 s82, s82, 0xffffff                               // 000000007D44: 8652FF52 00FFFFFF
	s_cmp_lt_u32 s82, s66                                      // 000000007D4C: BF0A4252
	s_cselect_b32 s21, s36, s60                                // 000000007D50: 85153C24
	s_mov_b64 exec, s[20:21]                                   // 000000007D54: BEFE0114
	buffer_store_dword v73, v6, s[8:11], 0 offen               // 000000007D58: E0701000 80024906
	buffer_store_dword v75, v6, s[8:11], 0 offen offset:128    // 000000007D60: E0701080 80024B06
	buffer_store_dword v77, v6, s[8:11], 0 offen offset:256    // 000000007D68: E0701100 80024D06
	buffer_store_dword v79, v6, s[8:11], 0 offen offset:384    // 000000007D70: E0701180 80024F06
	buffer_store_dword v81, v6, s[8:11], 0 offen offset:512    // 000000007D78: E0701200 80025106
	buffer_store_dword v83, v6, s[8:11], 0 offen offset:640    // 000000007D80: E0701280 80025306
	buffer_store_dword v85, v6, s[8:11], 0 offen offset:768    // 000000007D88: E0701300 80025506
	buffer_store_dword v87, v6, s[8:11], 0 offen offset:896    // 000000007D90: E0701380 80025706
	s_mov_b64 exec, s[36:37]                                   // 000000007D98: BEFE0124
	v_mov_b32_e32 v6, v45                                      // 000000007D9C: 7E0C032D
	s_mov_b64 s[60:61], 0                                      // 000000007DA0: BEBC0180
	v_readlane_b32 s82, v3, 8                                  // 000000007DA4: D2890052 00011103
	s_and_b32 s82, s82, 0xffffff                               // 000000007DAC: 8652FF52 00FFFFFF
	s_cmp_lt_u32 s82, s66                                      // 000000007DB4: BF0A4252
	s_cselect_b32 s20, s36, s60                                // 000000007DB8: 85143C24
	v_readlane_b32 s82, v3, 9                                  // 000000007DBC: D2890052 00011303
	s_and_b32 s82, s82, 0xffffff                               // 000000007DC4: 8652FF52 00FFFFFF
	s_cmp_lt_u32 s82, s66                                      // 000000007DCC: BF0A4252
	s_cselect_b32 s21, s36, s60                                // 000000007DD0: 85153C24
	s_mov_b64 exec, s[20:21]                                   // 000000007DD4: BEFE0114
	buffer_store_dword v88, v6, s[8:11], 0 offen               // 000000007DD8: E0701000 80025806
	buffer_store_dword v90, v6, s[8:11], 0 offen offset:128    // 000000007DE0: E0701080 80025A06
	buffer_store_dword v92, v6, s[8:11], 0 offen offset:256    // 000000007DE8: E0701100 80025C06
	buffer_store_dword v94, v6, s[8:11], 0 offen offset:384    // 000000007DF0: E0701180 80025E06
	buffer_store_dword v96, v6, s[8:11], 0 offen offset:512    // 000000007DF8: E0701200 80026006
	buffer_store_dword v98, v6, s[8:11], 0 offen offset:640    // 000000007E00: E0701280 80026206
	buffer_store_dword v100, v6, s[8:11], 0 offen offset:768   // 000000007E08: E0701300 80026406
	buffer_store_dword v102, v6, s[8:11], 0 offen offset:896   // 000000007E10: E0701380 80026606
	s_mov_b64 exec, s[36:37]                                   // 000000007E18: BEFE0124
	v_mov_b32_e32 v6, v46                                      // 000000007E1C: 7E0C032E
	s_mov_b64 s[60:61], 0                                      // 000000007E20: BEBC0180
	v_readlane_b32 s82, v3, 10                                 // 000000007E24: D2890052 00011503
	s_and_b32 s82, s82, 0xffffff                               // 000000007E2C: 8652FF52 00FFFFFF
	s_cmp_lt_u32 s82, s66                                      // 000000007E34: BF0A4252
	s_cselect_b32 s20, s36, s60                                // 000000007E38: 85143C24
	v_readlane_b32 s82, v3, 11                                 // 000000007E3C: D2890052 00011703
	s_and_b32 s82, s82, 0xffffff                               // 000000007E44: 8652FF52 00FFFFFF
	s_cmp_lt_u32 s82, s66                                      // 000000007E4C: BF0A4252
	s_cselect_b32 s21, s36, s60                                // 000000007E50: 85153C24
	s_mov_b64 exec, s[20:21]                                   // 000000007E54: BEFE0114
	buffer_store_dword v89, v6, s[8:11], 0 offen               // 000000007E58: E0701000 80025906
	buffer_store_dword v91, v6, s[8:11], 0 offen offset:128    // 000000007E60: E0701080 80025B06
	buffer_store_dword v93, v6, s[8:11], 0 offen offset:256    // 000000007E68: E0701100 80025D06
	buffer_store_dword v95, v6, s[8:11], 0 offen offset:384    // 000000007E70: E0701180 80025F06
	buffer_store_dword v97, v6, s[8:11], 0 offen offset:512    // 000000007E78: E0701200 80026106
	buffer_store_dword v99, v6, s[8:11], 0 offen offset:640    // 000000007E80: E0701280 80026306
	buffer_store_dword v101, v6, s[8:11], 0 offen offset:768   // 000000007E88: E0701300 80026506
	buffer_store_dword v103, v6, s[8:11], 0 offen offset:896   // 000000007E90: E0701380 80026706
	s_mov_b64 exec, s[36:37]                                   // 000000007E98: BEFE0124
	s_branch label_3369                                        // 000000007E9C: BF821E3E

0000000000007ea0 <label_1528>:
	ds_write_b64 v20, v[56:57]                                 // 000000007EA0: D89A0000 00003814
	ds_write_b64 v20, v[60:61] offset:17408                    // 000000007EA8: D89A4400 00003C14
	ds_write_b64 v20, v[64:65] offset:34816                    // 000000007EB0: D89A8800 00004014
	ds_write_b64 v20, v[68:69] offset:2176                     // 000000007EB8: D89A0880 00004414
	ds_write_b64 v20, v[72:73] offset:19584                    // 000000007EC0: D89A4C80 00004814
	ds_write_b64 v20, v[76:77] offset:36992                    // 000000007EC8: D89A9080 00004C14
	ds_write_b64 v20, v[80:81] offset:4352                     // 000000007ED0: D89A1100 00005014
	ds_write_b64 v20, v[84:85] offset:21760                    // 000000007ED8: D89A5500 00005414
	ds_write_b64 v20, v[88:89] offset:39168                    // 000000007EE0: D89A9900 00005814
	ds_write_b64 v20, v[92:93] offset:6528                     // 000000007EE8: D89A1980 00005C14
	ds_write_b64 v20, v[96:97] offset:23936                    // 000000007EF0: D89A5D80 00006014
	ds_write_b64 v20, v[100:101] offset:41344                  // 000000007EF8: D89AA180 00006414
	ds_write_b64 v20, v[104:105] offset:8704                   // 000000007F00: D89A2200 00006814
	ds_write_b64 v20, v[108:109] offset:26112                  // 000000007F08: D89A6600 00006C14
	ds_write_b64 v20, v[112:113] offset:43520                  // 000000007F10: D89AAA00 00007014
	ds_write_b64 v20, v[116:117] offset:10880                  // 000000007F18: D89A2A80 00007414
	ds_write_b64 v20, v[120:121] offset:28288                  // 000000007F20: D89A6E80 00007814
	ds_write_b64 v20, v[124:125] offset:45696                  // 000000007F28: D89AB280 00007C14
	ds_write_b64 v20, v[128:129] offset:13056                  // 000000007F30: D89A3300 00008014
	ds_write_b64 v20, v[132:133] offset:30464                  // 000000007F38: D89A7700 00008414
	ds_write_b64 v20, v[136:137] offset:47872                  // 000000007F40: D89ABB00 00008814
	ds_write_b64 v20, v[140:141] offset:15232                  // 000000007F48: D89A3B80 00008C14
	ds_write_b64 v20, v[144:145] offset:32640                  // 000000007F50: D89A7F80 00009014
	ds_write_b64 v20, v[148:149] offset:50048                  // 000000007F58: D89AC380 00009414
	v_lshrrev_b32_e32 v4, 5, v0                                // 000000007F60: 20080085
	v_xor_b32_e32 v5, 1, v4                                    // 000000007F64: 2A0A0881
	s_mul_i32 s60, s65, 2                                      // 000000007F68: 923C8241
	s_cmp_eq_u32 s88, 0                                        // 000000007F6C: BF068058
	s_cselect_b32 s61, 1, 4                                    // 000000007F70: 853D8481
	s_mul_i32 s60, s61, s60                                    // 000000007F74: 923C3C3D
	v_readlane_b32 s82, v3, 0                                  // 000000007F78: D2890052 00010103
	s_lshr_b32 s61, s82, 24                                    // 000000007F80: 8F3D9852
	s_and_b32 s82, s82, 0xffffff                               // 000000007F84: 8652FF52 00FFFFFF
	s_mul_i32 s82, s82, s71                                    // 000000007F8C: 92524752
	s_mul_i32 s61, s60, s61                                    // 000000007F90: 923D3D3C
	s_add_u32 s82, s82, s61                                    // 000000007F94: 80523D52
	v_mul_lo_u32 v6, v5, s82                                   // 000000007F98: D2850006 0000A505
	v_readlane_b32 s82, v3, 1                                  // 000000007FA0: D2890052 00010303
	s_lshr_b32 s61, s82, 24                                    // 000000007FA8: 8F3D9852
	s_and_b32 s82, s82, 0xffffff                               // 000000007FAC: 8652FF52 00FFFFFF
	s_mul_i32 s82, s82, s71                                    // 000000007FB4: 92524752
	s_mul_i32 s61, s60, s61                                    // 000000007FB8: 923D3D3C
	s_add_u32 s82, s82, s61                                    // 000000007FBC: 80523D52
	v_mul_lo_u32 v7, v4, s82                                   // 000000007FC0: D2850007 0000A504
	v_add_u32_e32 v41, v6, v7                                  // 000000007FC8: 68520F06
	v_readlane_b32 s82, v3, 2                                  // 000000007FCC: D2890052 00010503
	s_lshr_b32 s61, s82, 24                                    // 000000007FD4: 8F3D9852
	s_and_b32 s82, s82, 0xffffff                               // 000000007FD8: 8652FF52 00FFFFFF
	s_mul_i32 s82, s82, s71                                    // 000000007FE0: 92524752
	s_mul_i32 s61, s60, s61                                    // 000000007FE4: 923D3D3C
	s_add_u32 s82, s82, s61                                    // 000000007FE8: 80523D52
	v_mul_lo_u32 v6, v5, s82                                   // 000000007FEC: D2850006 0000A505
	v_readlane_b32 s82, v3, 3                                  // 000000007FF4: D2890052 00010703
	s_lshr_b32 s61, s82, 24                                    // 000000007FFC: 8F3D9852
	s_and_b32 s82, s82, 0xffffff                               // 000000008000: 8652FF52 00FFFFFF
	s_mul_i32 s82, s82, s71                                    // 000000008008: 92524752
	s_mul_i32 s61, s60, s61                                    // 00000000800C: 923D3D3C
	s_add_u32 s82, s82, s61                                    // 000000008010: 80523D52
	v_mul_lo_u32 v7, v4, s82                                   // 000000008014: D2850007 0000A504
	v_add_u32_e32 v42, v6, v7                                  // 00000000801C: 68540F06
	v_readlane_b32 s82, v3, 4                                  // 000000008020: D2890052 00010903
	s_lshr_b32 s61, s82, 24                                    // 000000008028: 8F3D9852
	s_and_b32 s82, s82, 0xffffff                               // 00000000802C: 8652FF52 00FFFFFF
	s_mul_i32 s82, s82, s71                                    // 000000008034: 92524752
	s_mul_i32 s61, s60, s61                                    // 000000008038: 923D3D3C
	s_add_u32 s82, s82, s61                                    // 00000000803C: 80523D52
	v_mul_lo_u32 v6, v5, s82                                   // 000000008040: D2850006 0000A505
	v_readlane_b32 s82, v3, 5                                  // 000000008048: D2890052 00010B03
	s_lshr_b32 s61, s82, 24                                    // 000000008050: 8F3D9852
	s_and_b32 s82, s82, 0xffffff                               // 000000008054: 8652FF52 00FFFFFF
	s_mul_i32 s82, s82, s71                                    // 00000000805C: 92524752
	s_mul_i32 s61, s60, s61                                    // 000000008060: 923D3D3C
	s_add_u32 s82, s82, s61                                    // 000000008064: 80523D52
	v_mul_lo_u32 v7, v4, s82                                   // 000000008068: D2850007 0000A504
	v_add_u32_e32 v43, v6, v7                                  // 000000008070: 68560F06
	v_readlane_b32 s82, v3, 6                                  // 000000008074: D2890052 00010D03
	s_lshr_b32 s61, s82, 24                                    // 00000000807C: 8F3D9852
	s_and_b32 s82, s82, 0xffffff                               // 000000008080: 8652FF52 00FFFFFF
	s_mul_i32 s82, s82, s71                                    // 000000008088: 92524752
	s_mul_i32 s61, s60, s61                                    // 00000000808C: 923D3D3C
	s_add_u32 s82, s82, s61                                    // 000000008090: 80523D52
	v_mul_lo_u32 v6, v5, s82                                   // 000000008094: D2850006 0000A505
	v_readlane_b32 s82, v3, 7                                  // 00000000809C: D2890052 00010F03
	s_lshr_b32 s61, s82, 24                                    // 0000000080A4: 8F3D9852
	s_and_b32 s82, s82, 0xffffff                               // 0000000080A8: 8652FF52 00FFFFFF
	s_mul_i32 s82, s82, s71                                    // 0000000080B0: 92524752
	s_mul_i32 s61, s60, s61                                    // 0000000080B4: 923D3D3C
	s_add_u32 s82, s82, s61                                    // 0000000080B8: 80523D52
	v_mul_lo_u32 v7, v4, s82                                   // 0000000080BC: D2850007 0000A504
	v_add_u32_e32 v44, v6, v7                                  // 0000000080C4: 68580F06
	v_readlane_b32 s82, v3, 8                                  // 0000000080C8: D2890052 00011103
	s_lshr_b32 s61, s82, 24                                    // 0000000080D0: 8F3D9852
	s_and_b32 s82, s82, 0xffffff                               // 0000000080D4: 8652FF52 00FFFFFF
	s_mul_i32 s82, s82, s71                                    // 0000000080DC: 92524752
	s_mul_i32 s61, s60, s61                                    // 0000000080E0: 923D3D3C
	s_add_u32 s82, s82, s61                                    // 0000000080E4: 80523D52
	v_mul_lo_u32 v6, v5, s82                                   // 0000000080E8: D2850006 0000A505
	v_readlane_b32 s82, v3, 9                                  // 0000000080F0: D2890052 00011303
	s_lshr_b32 s61, s82, 24                                    // 0000000080F8: 8F3D9852
	s_and_b32 s82, s82, 0xffffff                               // 0000000080FC: 8652FF52 00FFFFFF
	s_mul_i32 s82, s82, s71                                    // 000000008104: 92524752
	s_mul_i32 s61, s60, s61                                    // 000000008108: 923D3D3C
	s_add_u32 s82, s82, s61                                    // 00000000810C: 80523D52
	v_mul_lo_u32 v7, v4, s82                                   // 000000008110: D2850007 0000A504
	v_add_u32_e32 v45, v6, v7                                  // 000000008118: 685A0F06
	v_readlane_b32 s82, v3, 10                                 // 00000000811C: D2890052 00011503
	s_lshr_b32 s61, s82, 24                                    // 000000008124: 8F3D9852
	s_and_b32 s82, s82, 0xffffff                               // 000000008128: 8652FF52 00FFFFFF
	s_mul_i32 s82, s82, s71                                    // 000000008130: 92524752
	s_mul_i32 s61, s60, s61                                    // 000000008134: 923D3D3C
	s_add_u32 s82, s82, s61                                    // 000000008138: 80523D52
	v_mul_lo_u32 v6, v5, s82                                   // 00000000813C: D2850006 0000A505
	v_readlane_b32 s82, v3, 11                                 // 000000008144: D2890052 00011703
	s_lshr_b32 s61, s82, 24                                    // 00000000814C: 8F3D9852
	s_and_b32 s82, s82, 0xffffff                               // 000000008150: 8652FF52 00FFFFFF
	s_mul_i32 s82, s82, s71                                    // 000000008158: 92524752
	s_mul_i32 s61, s60, s61                                    // 00000000815C: 923D3D3C
	s_add_u32 s82, s82, s61                                    // 000000008160: 80523D52
	v_mul_lo_u32 v7, v4, s82                                   // 000000008164: D2850007 0000A504
	v_add_u32_e32 v46, v6, v7                                  // 00000000816C: 685C0F06
	v_and_b32_e32 v4, 31, v0                                   // 000000008170: 2608009F
	v_lshrrev_b32_e32 v4, 1, v4                                // 000000008174: 20080881
	s_cmp_eq_u32 s88, 0                                        // 000000008178: BF068058
	s_cselect_b32 s61, 2, 4                                    // 00000000817C: 853D8482
	v_mul_lo_u32 v4, v4, s61                                   // 000000008180: D2850004 00007B04
	v_and_b32_e64 v5, v0, 1                                    // 000000008188: D1130005 00010300
	v_add_u32_e32 v4, v4, v5                                   // 000000008190: 68080B04
	v_lshlrev_b32_e32 v4, 2, v4                                // 000000008194: 24080882
	v_add_u32_e32 v41, v41, v4                                 // 000000008198: 68520929
	v_add_u32_e32 v42, v42, v4                                 // 00000000819C: 6854092A
	v_add_u32_e32 v43, v43, v4                                 // 0000000081A0: 6856092B
	v_add_u32_e32 v44, v44, v4                                 // 0000000081A4: 6858092C
	v_add_u32_e32 v45, v45, v4                                 // 0000000081A8: 685A092D
	v_add_u32_e32 v46, v46, v4                                 // 0000000081AC: 685C092E
	s_waitcnt lgkmcnt(0)                                       // 0000000081B0: BF8CC07F
	s_barrier                                                  // 0000000081B4: BF8A0000
	ds_read_b32 v56, v21                                       // 0000000081B8: D86C0000 38000015
	ds_read_b32 v57, v21 offset:64                             // 0000000081C0: D86C0040 39000015
	ds_read_b32 v60, v21 offset:2176                           // 0000000081C8: D86C0880 3C000015
	ds_read_b32 v61, v21 offset:2240                           // 0000000081D0: D86C08C0 3D000015
	ds_read_b32 v64, v21 offset:4352                           // 0000000081D8: D86C1100 40000015
	ds_read_b32 v65, v21 offset:4416                           // 0000000081E0: D86C1140 41000015
	ds_read_b32 v68, v21 offset:6528                           // 0000000081E8: D86C1980 44000015
	ds_read_b32 v69, v21 offset:6592                           // 0000000081F0: D86C19C0 45000015
	ds_read_b32 v72, v21 offset:8704                           // 0000000081F8: D86C2200 48000015
	ds_read_b32 v73, v21 offset:8768                           // 000000008200: D86C2240 49000015
	ds_read_b32 v76, v21 offset:10880                          // 000000008208: D86C2A80 4C000015
	ds_read_b32 v77, v21 offset:10944                          // 000000008210: D86C2AC0 4D000015
	ds_read_b32 v80, v21 offset:13056                          // 000000008218: D86C3300 50000015
	ds_read_b32 v81, v21 offset:13120                          // 000000008220: D86C3340 51000015
	ds_read_b32 v84, v21 offset:15232                          // 000000008228: D86C3B80 54000015
	ds_read_b32 v85, v21 offset:15296                          // 000000008230: D86C3BC0 55000015
	ds_read_b32 v88, v21 offset:17408                          // 000000008238: D86C4400 58000015
	ds_read_b32 v89, v21 offset:17472                          // 000000008240: D86C4440 59000015
	ds_read_b32 v92, v21 offset:19584                          // 000000008248: D86C4C80 5C000015
	ds_read_b32 v93, v21 offset:19648                          // 000000008250: D86C4CC0 5D000015
	ds_read_b32 v96, v21 offset:21760                          // 000000008258: D86C5500 60000015
	ds_read_b32 v97, v21 offset:21824                          // 000000008260: D86C5540 61000015
	ds_read_b32 v100, v21 offset:23936                         // 000000008268: D86C5D80 64000015
	ds_read_b32 v101, v21 offset:24000                         // 000000008270: D86C5DC0 65000015
	ds_read_b32 v104, v21 offset:26112                         // 000000008278: D86C6600 68000015
	ds_read_b32 v105, v21 offset:26176                         // 000000008280: D86C6640 69000015
	ds_read_b32 v108, v21 offset:28288                         // 000000008288: D86C6E80 6C000015
	ds_read_b32 v109, v21 offset:28352                         // 000000008290: D86C6EC0 6D000015
	ds_read_b32 v112, v21 offset:30464                         // 000000008298: D86C7700 70000015
	ds_read_b32 v113, v21 offset:30528                         // 0000000082A0: D86C7740 71000015
	ds_read_b32 v116, v21 offset:32640                         // 0000000082A8: D86C7F80 74000015
	ds_read_b32 v117, v21 offset:32704                         // 0000000082B0: D86C7FC0 75000015
	ds_read_b32 v120, v21 offset:34816                         // 0000000082B8: D86C8800 78000015
	ds_read_b32 v121, v21 offset:34880                         // 0000000082C0: D86C8840 79000015
	ds_read_b32 v124, v21 offset:36992                         // 0000000082C8: D86C9080 7C000015
	ds_read_b32 v125, v21 offset:37056                         // 0000000082D0: D86C90C0 7D000015
	ds_read_b32 v128, v21 offset:39168                         // 0000000082D8: D86C9900 80000015
	ds_read_b32 v129, v21 offset:39232                         // 0000000082E0: D86C9940 81000015
	ds_read_b32 v132, v21 offset:41344                         // 0000000082E8: D86CA180 84000015
	ds_read_b32 v133, v21 offset:41408                         // 0000000082F0: D86CA1C0 85000015
	ds_read_b32 v136, v21 offset:43520                         // 0000000082F8: D86CAA00 88000015
	ds_read_b32 v137, v21 offset:43584                         // 000000008300: D86CAA40 89000015
	ds_read_b32 v140, v21 offset:45696                         // 000000008308: D86CB280 8C000015
	ds_read_b32 v141, v21 offset:45760                         // 000000008310: D86CB2C0 8D000015
	ds_read_b32 v144, v21 offset:47872                         // 000000008318: D86CBB00 90000015
	ds_read_b32 v145, v21 offset:47936                         // 000000008320: D86CBB40 91000015
	ds_read_b32 v148, v21 offset:50048                         // 000000008328: D86CC380 94000015
	ds_read_b32 v149, v21 offset:50112                         // 000000008330: D86CC3C0 95000015
	s_waitcnt lgkmcnt(0)                                       // 000000008338: BF8CC07F
	s_mov_b32 s36, -1                                          // 00000000833C: BEA400C1
	s_mov_b32 s37, -1                                          // 000000008340: BEA500C1
	v_mov_b32_e32 v7, 0                                        // 000000008344: 7E0E0280
	s_mov_b64 exec, s[36:37]                                   // 000000008348: BEFE0124
	v_mov_b32_e32 v6, v41                                      // 00000000834C: 7E0C0329
	s_mov_b64 s[60:61], 0                                      // 000000008350: BEBC0180
	v_readlane_b32 s82, v3, 0                                  // 000000008354: D2890052 00010103
	s_and_b32 s82, s82, 0xffffff                               // 00000000835C: 8652FF52 00FFFFFF
	s_cmp_lt_u32 s82, s66                                      // 000000008364: BF0A4252
	s_cselect_b32 s20, s36, s60                                // 000000008368: 85143C24
	v_readlane_b32 s82, v3, 1                                  // 00000000836C: D2890052 00010303
	s_and_b32 s82, s82, 0xffffff                               // 000000008374: 8652FF52 00FFFFFF
	s_cmp_lt_u32 s82, s66                                      // 00000000837C: BF0A4252
	s_cselect_b32 s21, s36, s60                                // 000000008380: 85153C24
	s_mov_b64 exec, s[20:21]                                   // 000000008384: BEFE0114
	global_atomic_add_f32 v6, v56, s[8:9]                      // 000000008388: DD348000 00083806
	global_atomic_add_f32 v6, v60, s[8:9] offset:256           // 000000008390: DD348100 00083C06
	global_atomic_add_f32 v6, v64, s[8:9] offset:512           // 000000008398: DD348200 00084006
	global_atomic_add_f32 v6, v68, s[8:9] offset:768           // 0000000083A0: DD348300 00084406
	global_atomic_add_f32 v6, v72, s[8:9] offset:1024          // 0000000083A8: DD348400 00084806
	global_atomic_add_f32 v6, v76, s[8:9] offset:1280          // 0000000083B0: DD348500 00084C06
	global_atomic_add_f32 v6, v80, s[8:9] offset:1536          // 0000000083B8: DD348600 00085006
	global_atomic_add_f32 v6, v84, s[8:9] offset:1792          // 0000000083C0: DD348700 00085406
	s_mov_b64 exec, s[36:37]                                   // 0000000083C8: BEFE0124
	v_mov_b32_e32 v6, v42                                      // 0000000083CC: 7E0C032A
	s_mov_b64 s[60:61], 0                                      // 0000000083D0: BEBC0180
	v_readlane_b32 s82, v3, 2                                  // 0000000083D4: D2890052 00010503
	s_and_b32 s82, s82, 0xffffff                               // 0000000083DC: 8652FF52 00FFFFFF
	s_cmp_lt_u32 s82, s66                                      // 0000000083E4: BF0A4252
	s_cselect_b32 s20, s36, s60                                // 0000000083E8: 85143C24
	v_readlane_b32 s82, v3, 3                                  // 0000000083EC: D2890052 00010703
	s_and_b32 s82, s82, 0xffffff                               // 0000000083F4: 8652FF52 00FFFFFF
	s_cmp_lt_u32 s82, s66                                      // 0000000083FC: BF0A4252
	s_cselect_b32 s21, s36, s60                                // 000000008400: 85153C24
	s_mov_b64 exec, s[20:21]                                   // 000000008404: BEFE0114
	global_atomic_add_f32 v6, v57, s[8:9]                      // 000000008408: DD348000 00083906
	global_atomic_add_f32 v6, v61, s[8:9] offset:256           // 000000008410: DD348100 00083D06
	global_atomic_add_f32 v6, v65, s[8:9] offset:512           // 000000008418: DD348200 00084106
	global_atomic_add_f32 v6, v69, s[8:9] offset:768           // 000000008420: DD348300 00084506
	global_atomic_add_f32 v6, v73, s[8:9] offset:1024          // 000000008428: DD348400 00084906
	global_atomic_add_f32 v6, v77, s[8:9] offset:1280          // 000000008430: DD348500 00084D06
	global_atomic_add_f32 v6, v81, s[8:9] offset:1536          // 000000008438: DD348600 00085106
	global_atomic_add_f32 v6, v85, s[8:9] offset:1792          // 000000008440: DD348700 00085506
	s_mov_b64 exec, s[36:37]                                   // 000000008448: BEFE0124
	v_mov_b32_e32 v6, v43                                      // 00000000844C: 7E0C032B
	s_mov_b64 s[60:61], 0                                      // 000000008450: BEBC0180
	v_readlane_b32 s82, v3, 4                                  // 000000008454: D2890052 00010903
	s_and_b32 s82, s82, 0xffffff                               // 00000000845C: 8652FF52 00FFFFFF
	s_cmp_lt_u32 s82, s66                                      // 000000008464: BF0A4252
	s_cselect_b32 s20, s36, s60                                // 000000008468: 85143C24
	v_readlane_b32 s82, v3, 5                                  // 00000000846C: D2890052 00010B03
	s_and_b32 s82, s82, 0xffffff                               // 000000008474: 8652FF52 00FFFFFF
	s_cmp_lt_u32 s82, s66                                      // 00000000847C: BF0A4252
	s_cselect_b32 s21, s36, s60                                // 000000008480: 85153C24
	s_mov_b64 exec, s[20:21]                                   // 000000008484: BEFE0114
	global_atomic_add_f32 v6, v88, s[8:9]                      // 000000008488: DD348000 00085806
	global_atomic_add_f32 v6, v92, s[8:9] offset:256           // 000000008490: DD348100 00085C06
	global_atomic_add_f32 v6, v96, s[8:9] offset:512           // 000000008498: DD348200 00086006
	global_atomic_add_f32 v6, v100, s[8:9] offset:768          // 0000000084A0: DD348300 00086406
	global_atomic_add_f32 v6, v104, s[8:9] offset:1024         // 0000000084A8: DD348400 00086806
	global_atomic_add_f32 v6, v108, s[8:9] offset:1280         // 0000000084B0: DD348500 00086C06
	global_atomic_add_f32 v6, v112, s[8:9] offset:1536         // 0000000084B8: DD348600 00087006
	global_atomic_add_f32 v6, v116, s[8:9] offset:1792         // 0000000084C0: DD348700 00087406
	s_mov_b64 exec, s[36:37]                                   // 0000000084C8: BEFE0124
	v_mov_b32_e32 v6, v44                                      // 0000000084CC: 7E0C032C
	s_mov_b64 s[60:61], 0                                      // 0000000084D0: BEBC0180
	v_readlane_b32 s82, v3, 6                                  // 0000000084D4: D2890052 00010D03
	s_and_b32 s82, s82, 0xffffff                               // 0000000084DC: 8652FF52 00FFFFFF
	s_cmp_lt_u32 s82, s66                                      // 0000000084E4: BF0A4252
	s_cselect_b32 s20, s36, s60                                // 0000000084E8: 85143C24
	v_readlane_b32 s82, v3, 7                                  // 0000000084EC: D2890052 00010F03
	s_and_b32 s82, s82, 0xffffff                               // 0000000084F4: 8652FF52 00FFFFFF
	s_cmp_lt_u32 s82, s66                                      // 0000000084FC: BF0A4252
	s_cselect_b32 s21, s36, s60                                // 000000008500: 85153C24
	s_mov_b64 exec, s[20:21]                                   // 000000008504: BEFE0114
	global_atomic_add_f32 v6, v89, s[8:9]                      // 000000008508: DD348000 00085906
	global_atomic_add_f32 v6, v93, s[8:9] offset:256           // 000000008510: DD348100 00085D06
	global_atomic_add_f32 v6, v97, s[8:9] offset:512           // 000000008518: DD348200 00086106
	global_atomic_add_f32 v6, v101, s[8:9] offset:768          // 000000008520: DD348300 00086506
	global_atomic_add_f32 v6, v105, s[8:9] offset:1024         // 000000008528: DD348400 00086906
	global_atomic_add_f32 v6, v109, s[8:9] offset:1280         // 000000008530: DD348500 00086D06
	global_atomic_add_f32 v6, v113, s[8:9] offset:1536         // 000000008538: DD348600 00087106
	global_atomic_add_f32 v6, v117, s[8:9] offset:1792         // 000000008540: DD348700 00087506
	s_mov_b64 exec, s[36:37]                                   // 000000008548: BEFE0124
	v_mov_b32_e32 v6, v45                                      // 00000000854C: 7E0C032D
	s_mov_b64 s[60:61], 0                                      // 000000008550: BEBC0180
	v_readlane_b32 s82, v3, 8                                  // 000000008554: D2890052 00011103
	s_and_b32 s82, s82, 0xffffff                               // 00000000855C: 8652FF52 00FFFFFF
	s_cmp_lt_u32 s82, s66                                      // 000000008564: BF0A4252
	s_cselect_b32 s20, s36, s60                                // 000000008568: 85143C24
	v_readlane_b32 s82, v3, 9                                  // 00000000856C: D2890052 00011303
	s_and_b32 s82, s82, 0xffffff                               // 000000008574: 8652FF52 00FFFFFF
	s_cmp_lt_u32 s82, s66                                      // 00000000857C: BF0A4252
	s_cselect_b32 s21, s36, s60                                // 000000008580: 85153C24
	s_mov_b64 exec, s[20:21]                                   // 000000008584: BEFE0114
	global_atomic_add_f32 v6, v120, s[8:9]                     // 000000008588: DD348000 00087806
	global_atomic_add_f32 v6, v124, s[8:9] offset:256          // 000000008590: DD348100 00087C06
	global_atomic_add_f32 v6, v128, s[8:9] offset:512          // 000000008598: DD348200 00088006
	global_atomic_add_f32 v6, v132, s[8:9] offset:768          // 0000000085A0: DD348300 00088406
	global_atomic_add_f32 v6, v136, s[8:9] offset:1024         // 0000000085A8: DD348400 00088806
	global_atomic_add_f32 v6, v140, s[8:9] offset:1280         // 0000000085B0: DD348500 00088C06
	global_atomic_add_f32 v6, v144, s[8:9] offset:1536         // 0000000085B8: DD348600 00089006
	global_atomic_add_f32 v6, v148, s[8:9] offset:1792         // 0000000085C0: DD348700 00089406
	s_mov_b64 exec, s[36:37]                                   // 0000000085C8: BEFE0124
	v_mov_b32_e32 v6, v46                                      // 0000000085CC: 7E0C032E
	s_mov_b64 s[60:61], 0                                      // 0000000085D0: BEBC0180
	v_readlane_b32 s82, v3, 10                                 // 0000000085D4: D2890052 00011503
	s_and_b32 s82, s82, 0xffffff                               // 0000000085DC: 8652FF52 00FFFFFF
	s_cmp_lt_u32 s82, s66                                      // 0000000085E4: BF0A4252
	s_cselect_b32 s20, s36, s60                                // 0000000085E8: 85143C24
	v_readlane_b32 s82, v3, 11                                 // 0000000085EC: D2890052 00011703
	s_and_b32 s82, s82, 0xffffff                               // 0000000085F4: 8652FF52 00FFFFFF
	s_cmp_lt_u32 s82, s66                                      // 0000000085FC: BF0A4252
	s_cselect_b32 s21, s36, s60                                // 000000008600: 85153C24
	s_mov_b64 exec, s[20:21]                                   // 000000008604: BEFE0114
	global_atomic_add_f32 v6, v121, s[8:9]                     // 000000008608: DD348000 00087906
	global_atomic_add_f32 v6, v125, s[8:9] offset:256          // 000000008610: DD348100 00087D06
	global_atomic_add_f32 v6, v129, s[8:9] offset:512          // 000000008618: DD348200 00088106
	global_atomic_add_f32 v6, v133, s[8:9] offset:768          // 000000008620: DD348300 00088506
	global_atomic_add_f32 v6, v137, s[8:9] offset:1024         // 000000008628: DD348400 00088906
	global_atomic_add_f32 v6, v141, s[8:9] offset:1280         // 000000008630: DD348500 00088D06
	global_atomic_add_f32 v6, v145, s[8:9] offset:1536         // 000000008638: DD348600 00089106
	global_atomic_add_f32 v6, v149, s[8:9] offset:1792         // 000000008640: DD348700 00089506
	s_mov_b64 exec, s[36:37]                                   // 000000008648: BEFE0124
	ds_write_b64 v20, v[58:59]                                 // 00000000864C: D89A0000 00003A14
	ds_write_b64 v20, v[62:63] offset:17408                    // 000000008654: D89A4400 00003E14
	ds_write_b64 v20, v[66:67] offset:34816                    // 00000000865C: D89A8800 00004214
	ds_write_b64 v20, v[70:71] offset:2176                     // 000000008664: D89A0880 00004614
	ds_write_b64 v20, v[74:75] offset:19584                    // 00000000866C: D89A4C80 00004A14
	ds_write_b64 v20, v[78:79] offset:36992                    // 000000008674: D89A9080 00004E14
	ds_write_b64 v20, v[82:83] offset:4352                     // 00000000867C: D89A1100 00005214
	ds_write_b64 v20, v[86:87] offset:21760                    // 000000008684: D89A5500 00005614
	ds_write_b64 v20, v[90:91] offset:39168                    // 00000000868C: D89A9900 00005A14
	ds_write_b64 v20, v[94:95] offset:6528                     // 000000008694: D89A1980 00005E14
	ds_write_b64 v20, v[98:99] offset:23936                    // 00000000869C: D89A5D80 00006214
	ds_write_b64 v20, v[102:103] offset:41344                  // 0000000086A4: D89AA180 00006614
	ds_write_b64 v20, v[106:107] offset:8704                   // 0000000086AC: D89A2200 00006A14
	ds_write_b64 v20, v[110:111] offset:26112                  // 0000000086B4: D89A6600 00006E14
	ds_write_b64 v20, v[114:115] offset:43520                  // 0000000086BC: D89AAA00 00007214
	ds_write_b64 v20, v[118:119] offset:10880                  // 0000000086C4: D89A2A80 00007614
	ds_write_b64 v20, v[122:123] offset:28288                  // 0000000086CC: D89A6E80 00007A14
	ds_write_b64 v20, v[126:127] offset:45696                  // 0000000086D4: D89AB280 00007E14
	ds_write_b64 v20, v[130:131] offset:13056                  // 0000000086DC: D89A3300 00008214
	ds_write_b64 v20, v[134:135] offset:30464                  // 0000000086E4: D89A7700 00008614
	ds_write_b64 v20, v[138:139] offset:47872                  // 0000000086EC: D89ABB00 00008A14
	ds_write_b64 v20, v[142:143] offset:15232                  // 0000000086F4: D89A3B80 00008E14
	ds_write_b64 v20, v[146:147] offset:32640                  // 0000000086FC: D89A7F80 00009214
	ds_write_b64 v20, v[150:151] offset:50048                  // 000000008704: D89AC380 00009614
	s_waitcnt lgkmcnt(0)                                       // 00000000870C: BF8CC07F
	s_barrier                                                  // 000000008710: BF8A0000
	ds_read_b32 v58, v21                                       // 000000008714: D86C0000 3A000015
	ds_read_b32 v59, v21 offset:64                             // 00000000871C: D86C0040 3B000015
	ds_read_b32 v62, v21 offset:2176                           // 000000008724: D86C0880 3E000015
	ds_read_b32 v63, v21 offset:2240                           // 00000000872C: D86C08C0 3F000015
	ds_read_b32 v66, v21 offset:4352                           // 000000008734: D86C1100 42000015
	ds_read_b32 v67, v21 offset:4416                           // 00000000873C: D86C1140 43000015
	ds_read_b32 v70, v21 offset:6528                           // 000000008744: D86C1980 46000015
	ds_read_b32 v71, v21 offset:6592                           // 00000000874C: D86C19C0 47000015
	ds_read_b32 v74, v21 offset:8704                           // 000000008754: D86C2200 4A000015
	ds_read_b32 v75, v21 offset:8768                           // 00000000875C: D86C2240 4B000015
	ds_read_b32 v78, v21 offset:10880                          // 000000008764: D86C2A80 4E000015
	ds_read_b32 v79, v21 offset:10944                          // 00000000876C: D86C2AC0 4F000015
	ds_read_b32 v82, v21 offset:13056                          // 000000008774: D86C3300 52000015
	ds_read_b32 v83, v21 offset:13120                          // 00000000877C: D86C3340 53000015
	ds_read_b32 v86, v21 offset:15232                          // 000000008784: D86C3B80 56000015
	ds_read_b32 v87, v21 offset:15296                          // 00000000878C: D86C3BC0 57000015
	ds_read_b32 v90, v21 offset:17408                          // 000000008794: D86C4400 5A000015
	ds_read_b32 v91, v21 offset:17472                          // 00000000879C: D86C4440 5B000015
	ds_read_b32 v94, v21 offset:19584                          // 0000000087A4: D86C4C80 5E000015
	ds_read_b32 v95, v21 offset:19648                          // 0000000087AC: D86C4CC0 5F000015
	ds_read_b32 v98, v21 offset:21760                          // 0000000087B4: D86C5500 62000015
	ds_read_b32 v99, v21 offset:21824                          // 0000000087BC: D86C5540 63000015
	ds_read_b32 v102, v21 offset:23936                         // 0000000087C4: D86C5D80 66000015
	ds_read_b32 v103, v21 offset:24000                         // 0000000087CC: D86C5DC0 67000015
	ds_read_b32 v106, v21 offset:26112                         // 0000000087D4: D86C6600 6A000015
	ds_read_b32 v107, v21 offset:26176                         // 0000000087DC: D86C6640 6B000015
	ds_read_b32 v110, v21 offset:28288                         // 0000000087E4: D86C6E80 6E000015
	ds_read_b32 v111, v21 offset:28352                         // 0000000087EC: D86C6EC0 6F000015
	ds_read_b32 v114, v21 offset:30464                         // 0000000087F4: D86C7700 72000015
	ds_read_b32 v115, v21 offset:30528                         // 0000000087FC: D86C7740 73000015
	ds_read_b32 v118, v21 offset:32640                         // 000000008804: D86C7F80 76000015
	ds_read_b32 v119, v21 offset:32704                         // 00000000880C: D86C7FC0 77000015
	ds_read_b32 v122, v21 offset:34816                         // 000000008814: D86C8800 7A000015
	ds_read_b32 v123, v21 offset:34880                         // 00000000881C: D86C8840 7B000015
	ds_read_b32 v126, v21 offset:36992                         // 000000008824: D86C9080 7E000015
	ds_read_b32 v127, v21 offset:37056                         // 00000000882C: D86C90C0 7F000015
	ds_read_b32 v130, v21 offset:39168                         // 000000008834: D86C9900 82000015
	ds_read_b32 v131, v21 offset:39232                         // 00000000883C: D86C9940 83000015
	ds_read_b32 v134, v21 offset:41344                         // 000000008844: D86CA180 86000015
	ds_read_b32 v135, v21 offset:41408                         // 00000000884C: D86CA1C0 87000015
	ds_read_b32 v138, v21 offset:43520                         // 000000008854: D86CAA00 8A000015
	ds_read_b32 v139, v21 offset:43584                         // 00000000885C: D86CAA40 8B000015
	ds_read_b32 v142, v21 offset:45696                         // 000000008864: D86CB280 8E000015
	ds_read_b32 v143, v21 offset:45760                         // 00000000886C: D86CB2C0 8F000015
	ds_read_b32 v146, v21 offset:47872                         // 000000008874: D86CBB00 92000015
	ds_read_b32 v147, v21 offset:47936                         // 00000000887C: D86CBB40 93000015
	ds_read_b32 v150, v21 offset:50048                         // 000000008884: D86CC380 96000015
	ds_read_b32 v151, v21 offset:50112                         // 00000000888C: D86CC3C0 97000015
	s_waitcnt lgkmcnt(0)                                       // 000000008894: BF8CC07F
	v_mov_b32_e32 v7, 0                                        // 000000008898: 7E0E0280
	s_mov_b64 exec, s[36:37]                                   // 00000000889C: BEFE0124
	v_mov_b32_e32 v6, v41                                      // 0000000088A0: 7E0C0329
	s_mov_b64 s[60:61], 0                                      // 0000000088A4: BEBC0180
	v_readlane_b32 s82, v3, 0                                  // 0000000088A8: D2890052 00010103
	s_and_b32 s82, s82, 0xffffff                               // 0000000088B0: 8652FF52 00FFFFFF
	s_cmp_lt_u32 s82, s66                                      // 0000000088B8: BF0A4252
	s_cselect_b32 s20, s36, s60                                // 0000000088BC: 85143C24
	v_readlane_b32 s82, v3, 1                                  // 0000000088C0: D2890052 00010303
	s_and_b32 s82, s82, 0xffffff                               // 0000000088C8: 8652FF52 00FFFFFF
	s_cmp_lt_u32 s82, s66                                      // 0000000088D0: BF0A4252
	s_cselect_b32 s21, s36, s60                                // 0000000088D4: 85153C24
	s_mov_b64 exec, s[20:21]                                   // 0000000088D8: BEFE0114
	global_atomic_add_f32 v6, v58, s[8:9] offset:8             // 0000000088DC: DD348008 00083A06
	global_atomic_add_f32 v6, v62, s[8:9] offset:264           // 0000000088E4: DD348108 00083E06
	global_atomic_add_f32 v6, v66, s[8:9] offset:520           // 0000000088EC: DD348208 00084206
	global_atomic_add_f32 v6, v70, s[8:9] offset:776           // 0000000088F4: DD348308 00084606
	global_atomic_add_f32 v6, v74, s[8:9] offset:1032          // 0000000088FC: DD348408 00084A06
	global_atomic_add_f32 v6, v78, s[8:9] offset:1288          // 000000008904: DD348508 00084E06
	global_atomic_add_f32 v6, v82, s[8:9] offset:1544          // 00000000890C: DD348608 00085206
	global_atomic_add_f32 v6, v86, s[8:9] offset:1800          // 000000008914: DD348708 00085606
	s_mov_b64 exec, s[36:37]                                   // 00000000891C: BEFE0124
	v_mov_b32_e32 v6, v42                                      // 000000008920: 7E0C032A
	s_mov_b64 s[60:61], 0                                      // 000000008924: BEBC0180
	v_readlane_b32 s82, v3, 2                                  // 000000008928: D2890052 00010503
	s_and_b32 s82, s82, 0xffffff                               // 000000008930: 8652FF52 00FFFFFF
	s_cmp_lt_u32 s82, s66                                      // 000000008938: BF0A4252
	s_cselect_b32 s20, s36, s60                                // 00000000893C: 85143C24
	v_readlane_b32 s82, v3, 3                                  // 000000008940: D2890052 00010703
	s_and_b32 s82, s82, 0xffffff                               // 000000008948: 8652FF52 00FFFFFF
	s_cmp_lt_u32 s82, s66                                      // 000000008950: BF0A4252
	s_cselect_b32 s21, s36, s60                                // 000000008954: 85153C24
	s_mov_b64 exec, s[20:21]                                   // 000000008958: BEFE0114
	global_atomic_add_f32 v6, v59, s[8:9] offset:8             // 00000000895C: DD348008 00083B06
	global_atomic_add_f32 v6, v63, s[8:9] offset:264           // 000000008964: DD348108 00083F06
	global_atomic_add_f32 v6, v67, s[8:9] offset:520           // 00000000896C: DD348208 00084306
	global_atomic_add_f32 v6, v71, s[8:9] offset:776           // 000000008974: DD348308 00084706
	global_atomic_add_f32 v6, v75, s[8:9] offset:1032          // 00000000897C: DD348408 00084B06
	global_atomic_add_f32 v6, v79, s[8:9] offset:1288          // 000000008984: DD348508 00084F06
	global_atomic_add_f32 v6, v83, s[8:9] offset:1544          // 00000000898C: DD348608 00085306
	global_atomic_add_f32 v6, v87, s[8:9] offset:1800          // 000000008994: DD348708 00085706
	s_mov_b64 exec, s[36:37]                                   // 00000000899C: BEFE0124
	v_mov_b32_e32 v6, v43                                      // 0000000089A0: 7E0C032B
	s_mov_b64 s[60:61], 0                                      // 0000000089A4: BEBC0180
	v_readlane_b32 s82, v3, 4                                  // 0000000089A8: D2890052 00010903
	s_and_b32 s82, s82, 0xffffff                               // 0000000089B0: 8652FF52 00FFFFFF
	s_cmp_lt_u32 s82, s66                                      // 0000000089B8: BF0A4252
	s_cselect_b32 s20, s36, s60                                // 0000000089BC: 85143C24
	v_readlane_b32 s82, v3, 5                                  // 0000000089C0: D2890052 00010B03
	s_and_b32 s82, s82, 0xffffff                               // 0000000089C8: 8652FF52 00FFFFFF
	s_cmp_lt_u32 s82, s66                                      // 0000000089D0: BF0A4252
	s_cselect_b32 s21, s36, s60                                // 0000000089D4: 85153C24
	s_mov_b64 exec, s[20:21]                                   // 0000000089D8: BEFE0114
	global_atomic_add_f32 v6, v90, s[8:9] offset:8             // 0000000089DC: DD348008 00085A06
	global_atomic_add_f32 v6, v94, s[8:9] offset:264           // 0000000089E4: DD348108 00085E06
	global_atomic_add_f32 v6, v98, s[8:9] offset:520           // 0000000089EC: DD348208 00086206
	global_atomic_add_f32 v6, v102, s[8:9] offset:776          // 0000000089F4: DD348308 00086606
	global_atomic_add_f32 v6, v106, s[8:9] offset:1032         // 0000000089FC: DD348408 00086A06
	global_atomic_add_f32 v6, v110, s[8:9] offset:1288         // 000000008A04: DD348508 00086E06
	global_atomic_add_f32 v6, v114, s[8:9] offset:1544         // 000000008A0C: DD348608 00087206
	global_atomic_add_f32 v6, v118, s[8:9] offset:1800         // 000000008A14: DD348708 00087606
	s_mov_b64 exec, s[36:37]                                   // 000000008A1C: BEFE0124
	v_mov_b32_e32 v6, v44                                      // 000000008A20: 7E0C032C
	s_mov_b64 s[60:61], 0                                      // 000000008A24: BEBC0180
	v_readlane_b32 s82, v3, 6                                  // 000000008A28: D2890052 00010D03
	s_and_b32 s82, s82, 0xffffff                               // 000000008A30: 8652FF52 00FFFFFF
	s_cmp_lt_u32 s82, s66                                      // 000000008A38: BF0A4252
	s_cselect_b32 s20, s36, s60                                // 000000008A3C: 85143C24
	v_readlane_b32 s82, v3, 7                                  // 000000008A40: D2890052 00010F03
	s_and_b32 s82, s82, 0xffffff                               // 000000008A48: 8652FF52 00FFFFFF
	s_cmp_lt_u32 s82, s66                                      // 000000008A50: BF0A4252
	s_cselect_b32 s21, s36, s60                                // 000000008A54: 85153C24
	s_mov_b64 exec, s[20:21]                                   // 000000008A58: BEFE0114
	global_atomic_add_f32 v6, v91, s[8:9] offset:8             // 000000008A5C: DD348008 00085B06
	global_atomic_add_f32 v6, v95, s[8:9] offset:264           // 000000008A64: DD348108 00085F06
	global_atomic_add_f32 v6, v99, s[8:9] offset:520           // 000000008A6C: DD348208 00086306
	global_atomic_add_f32 v6, v103, s[8:9] offset:776          // 000000008A74: DD348308 00086706
	global_atomic_add_f32 v6, v107, s[8:9] offset:1032         // 000000008A7C: DD348408 00086B06
	global_atomic_add_f32 v6, v111, s[8:9] offset:1288         // 000000008A84: DD348508 00086F06
	global_atomic_add_f32 v6, v115, s[8:9] offset:1544         // 000000008A8C: DD348608 00087306
	global_atomic_add_f32 v6, v119, s[8:9] offset:1800         // 000000008A94: DD348708 00087706
	s_mov_b64 exec, s[36:37]                                   // 000000008A9C: BEFE0124
	v_mov_b32_e32 v6, v45                                      // 000000008AA0: 7E0C032D
	s_mov_b64 s[60:61], 0                                      // 000000008AA4: BEBC0180
	v_readlane_b32 s82, v3, 8                                  // 000000008AA8: D2890052 00011103
	s_and_b32 s82, s82, 0xffffff                               // 000000008AB0: 8652FF52 00FFFFFF
	s_cmp_lt_u32 s82, s66                                      // 000000008AB8: BF0A4252
	s_cselect_b32 s20, s36, s60                                // 000000008ABC: 85143C24
	v_readlane_b32 s82, v3, 9                                  // 000000008AC0: D2890052 00011303
	s_and_b32 s82, s82, 0xffffff                               // 000000008AC8: 8652FF52 00FFFFFF
	s_cmp_lt_u32 s82, s66                                      // 000000008AD0: BF0A4252
	s_cselect_b32 s21, s36, s60                                // 000000008AD4: 85153C24
	s_mov_b64 exec, s[20:21]                                   // 000000008AD8: BEFE0114
	global_atomic_add_f32 v6, v122, s[8:9] offset:8            // 000000008ADC: DD348008 00087A06
	global_atomic_add_f32 v6, v126, s[8:9] offset:264          // 000000008AE4: DD348108 00087E06
	global_atomic_add_f32 v6, v130, s[8:9] offset:520          // 000000008AEC: DD348208 00088206
	global_atomic_add_f32 v6, v134, s[8:9] offset:776          // 000000008AF4: DD348308 00088606
	global_atomic_add_f32 v6, v138, s[8:9] offset:1032         // 000000008AFC: DD348408 00088A06
	global_atomic_add_f32 v6, v142, s[8:9] offset:1288         // 000000008B04: DD348508 00088E06
	global_atomic_add_f32 v6, v146, s[8:9] offset:1544         // 000000008B0C: DD348608 00089206
	global_atomic_add_f32 v6, v150, s[8:9] offset:1800         // 000000008B14: DD348708 00089606
	s_mov_b64 exec, s[36:37]                                   // 000000008B1C: BEFE0124
	v_mov_b32_e32 v6, v46                                      // 000000008B20: 7E0C032E
	s_mov_b64 s[60:61], 0                                      // 000000008B24: BEBC0180
	v_readlane_b32 s82, v3, 10                                 // 000000008B28: D2890052 00011503
	s_and_b32 s82, s82, 0xffffff                               // 000000008B30: 8652FF52 00FFFFFF
	s_cmp_lt_u32 s82, s66                                      // 000000008B38: BF0A4252
	s_cselect_b32 s20, s36, s60                                // 000000008B3C: 85143C24
	v_readlane_b32 s82, v3, 11                                 // 000000008B40: D2890052 00011703
	s_and_b32 s82, s82, 0xffffff                               // 000000008B48: 8652FF52 00FFFFFF
	s_cmp_lt_u32 s82, s66                                      // 000000008B50: BF0A4252
	s_cselect_b32 s21, s36, s60                                // 000000008B54: 85153C24
	s_mov_b64 exec, s[20:21]                                   // 000000008B58: BEFE0114
	global_atomic_add_f32 v6, v123, s[8:9] offset:8            // 000000008B5C: DD348008 00087B06
	global_atomic_add_f32 v6, v127, s[8:9] offset:264          // 000000008B64: DD348108 00087F06
	global_atomic_add_f32 v6, v131, s[8:9] offset:520          // 000000008B6C: DD348208 00088306
	global_atomic_add_f32 v6, v135, s[8:9] offset:776          // 000000008B74: DD348308 00088706
	global_atomic_add_f32 v6, v139, s[8:9] offset:1032         // 000000008B7C: DD348408 00088B06
	global_atomic_add_f32 v6, v143, s[8:9] offset:1288         // 000000008B84: DD348508 00088F06
	global_atomic_add_f32 v6, v147, s[8:9] offset:1544         // 000000008B8C: DD348608 00089306
	global_atomic_add_f32 v6, v151, s[8:9] offset:1800         // 000000008B94: DD348708 00089706
	s_mov_b64 exec, s[36:37]                                   // 000000008B9C: BEFE0124
	ds_write_b64 v20, v[152:153]                               // 000000008BA0: D89A0000 00009814
	ds_write_b64 v20, v[156:157] offset:17408                  // 000000008BA8: D89A4400 00009C14
	ds_write_b64 v20, v[160:161] offset:34816                  // 000000008BB0: D89A8800 0000A014
	ds_write_b64 v20, v[164:165] offset:2176                   // 000000008BB8: D89A0880 0000A414
	ds_write_b64 v20, v[168:169] offset:19584                  // 000000008BC0: D89A4C80 0000A814
	ds_write_b64 v20, v[172:173] offset:36992                  // 000000008BC8: D89A9080 0000AC14
	ds_write_b64 v20, v[176:177] offset:4352                   // 000000008BD0: D89A1100 0000B014
	ds_write_b64 v20, v[180:181] offset:21760                  // 000000008BD8: D89A5500 0000B414
	ds_write_b64 v20, v[184:185] offset:39168                  // 000000008BE0: D89A9900 0000B814
	ds_write_b64 v20, v[188:189] offset:6528                   // 000000008BE8: D89A1980 0000BC14
	ds_write_b64 v20, v[192:193] offset:23936                  // 000000008BF0: D89A5D80 0000C014
	ds_write_b64 v20, v[196:197] offset:41344                  // 000000008BF8: D89AA180 0000C414
	ds_write_b64 v20, v[200:201] offset:8704                   // 000000008C00: D89A2200 0000C814
	ds_write_b64 v20, v[204:205] offset:26112                  // 000000008C08: D89A6600 0000CC14
	ds_write_b64 v20, v[208:209] offset:43520                  // 000000008C10: D89AAA00 0000D014
	ds_write_b64 v20, v[212:213] offset:10880                  // 000000008C18: D89A2A80 0000D414
	ds_write_b64 v20, v[216:217] offset:28288                  // 000000008C20: D89A6E80 0000D814
	ds_write_b64 v20, v[220:221] offset:45696                  // 000000008C28: D89AB280 0000DC14
	ds_write_b64 v20, v[224:225] offset:13056                  // 000000008C30: D89A3300 0000E014
	ds_write_b64 v20, v[228:229] offset:30464                  // 000000008C38: D89A7700 0000E414
	ds_write_b64 v20, v[232:233] offset:47872                  // 000000008C40: D89ABB00 0000E814
	ds_write_b64 v20, v[236:237] offset:15232                  // 000000008C48: D89A3B80 0000EC14
	ds_write_b64 v20, v[240:241] offset:32640                  // 000000008C50: D89A7F80 0000F014
	ds_write_b64 v20, v[244:245] offset:50048                  // 000000008C58: D89AC380 0000F414
	s_waitcnt lgkmcnt(0)                                       // 000000008C60: BF8CC07F
	s_barrier                                                  // 000000008C64: BF8A0000
	ds_read_b32 v152, v21                                      // 000000008C68: D86C0000 98000015
	ds_read_b32 v153, v21 offset:64                            // 000000008C70: D86C0040 99000015
	ds_read_b32 v156, v21 offset:2176                          // 000000008C78: D86C0880 9C000015
	ds_read_b32 v157, v21 offset:2240                          // 000000008C80: D86C08C0 9D000015
	ds_read_b32 v160, v21 offset:4352                          // 000000008C88: D86C1100 A0000015
	ds_read_b32 v161, v21 offset:4416                          // 000000008C90: D86C1140 A1000015
	ds_read_b32 v164, v21 offset:6528                          // 000000008C98: D86C1980 A4000015
	ds_read_b32 v165, v21 offset:6592                          // 000000008CA0: D86C19C0 A5000015
	ds_read_b32 v168, v21 offset:8704                          // 000000008CA8: D86C2200 A8000015
	ds_read_b32 v169, v21 offset:8768                          // 000000008CB0: D86C2240 A9000015
	ds_read_b32 v172, v21 offset:10880                         // 000000008CB8: D86C2A80 AC000015
	ds_read_b32 v173, v21 offset:10944                         // 000000008CC0: D86C2AC0 AD000015
	ds_read_b32 v176, v21 offset:13056                         // 000000008CC8: D86C3300 B0000015
	ds_read_b32 v177, v21 offset:13120                         // 000000008CD0: D86C3340 B1000015
	ds_read_b32 v180, v21 offset:15232                         // 000000008CD8: D86C3B80 B4000015
	ds_read_b32 v181, v21 offset:15296                         // 000000008CE0: D86C3BC0 B5000015
	ds_read_b32 v184, v21 offset:17408                         // 000000008CE8: D86C4400 B8000015
	ds_read_b32 v185, v21 offset:17472                         // 000000008CF0: D86C4440 B9000015
	ds_read_b32 v188, v21 offset:19584                         // 000000008CF8: D86C4C80 BC000015
	ds_read_b32 v189, v21 offset:19648                         // 000000008D00: D86C4CC0 BD000015
	ds_read_b32 v192, v21 offset:21760                         // 000000008D08: D86C5500 C0000015
	ds_read_b32 v193, v21 offset:21824                         // 000000008D10: D86C5540 C1000015
	ds_read_b32 v196, v21 offset:23936                         // 000000008D18: D86C5D80 C4000015
	ds_read_b32 v197, v21 offset:24000                         // 000000008D20: D86C5DC0 C5000015
	ds_read_b32 v200, v21 offset:26112                         // 000000008D28: D86C6600 C8000015
	ds_read_b32 v201, v21 offset:26176                         // 000000008D30: D86C6640 C9000015
	ds_read_b32 v204, v21 offset:28288                         // 000000008D38: D86C6E80 CC000015
	ds_read_b32 v205, v21 offset:28352                         // 000000008D40: D86C6EC0 CD000015
	ds_read_b32 v208, v21 offset:30464                         // 000000008D48: D86C7700 D0000015
	ds_read_b32 v209, v21 offset:30528                         // 000000008D50: D86C7740 D1000015
	ds_read_b32 v212, v21 offset:32640                         // 000000008D58: D86C7F80 D4000015
	ds_read_b32 v213, v21 offset:32704                         // 000000008D60: D86C7FC0 D5000015
	ds_read_b32 v216, v21 offset:34816                         // 000000008D68: D86C8800 D8000015
	ds_read_b32 v217, v21 offset:34880                         // 000000008D70: D86C8840 D9000015
	ds_read_b32 v220, v21 offset:36992                         // 000000008D78: D86C9080 DC000015
	ds_read_b32 v221, v21 offset:37056                         // 000000008D80: D86C90C0 DD000015
	ds_read_b32 v224, v21 offset:39168                         // 000000008D88: D86C9900 E0000015
	ds_read_b32 v225, v21 offset:39232                         // 000000008D90: D86C9940 E1000015
	ds_read_b32 v228, v21 offset:41344                         // 000000008D98: D86CA180 E4000015
	ds_read_b32 v229, v21 offset:41408                         // 000000008DA0: D86CA1C0 E5000015
	ds_read_b32 v232, v21 offset:43520                         // 000000008DA8: D86CAA00 E8000015
	ds_read_b32 v233, v21 offset:43584                         // 000000008DB0: D86CAA40 E9000015
	ds_read_b32 v236, v21 offset:45696                         // 000000008DB8: D86CB280 EC000015
	ds_read_b32 v237, v21 offset:45760                         // 000000008DC0: D86CB2C0 ED000015
	ds_read_b32 v240, v21 offset:47872                         // 000000008DC8: D86CBB00 F0000015
	ds_read_b32 v241, v21 offset:47936                         // 000000008DD0: D86CBB40 F1000015
	ds_read_b32 v244, v21 offset:50048                         // 000000008DD8: D86CC380 F4000015
	ds_read_b32 v245, v21 offset:50112                         // 000000008DE0: D86CC3C0 F5000015
	s_mul_i32 s60, s65, 4                                      // 000000008DE8: 923C8441
	s_add_u32 s8, s60, s8                                      // 000000008DEC: 8008083C
	s_addc_u32 s9, 0, s9                                       // 000000008DF0: 82090980
	s_waitcnt lgkmcnt(0)                                       // 000000008DF4: BF8CC07F
	v_mov_b32_e32 v7, 0                                        // 000000008DF8: 7E0E0280
	s_mov_b64 exec, s[36:37]                                   // 000000008DFC: BEFE0124
	v_mov_b32_e32 v6, v41                                      // 000000008E00: 7E0C0329
	s_mov_b64 s[60:61], 0                                      // 000000008E04: BEBC0180
	v_readlane_b32 s82, v3, 0                                  // 000000008E08: D2890052 00010103
	s_and_b32 s82, s82, 0xffffff                               // 000000008E10: 8652FF52 00FFFFFF
	s_cmp_lt_u32 s82, s66                                      // 000000008E18: BF0A4252
	s_cselect_b32 s20, s36, s60                                // 000000008E1C: 85143C24
	v_readlane_b32 s82, v3, 1                                  // 000000008E20: D2890052 00010303
	s_and_b32 s82, s82, 0xffffff                               // 000000008E28: 8652FF52 00FFFFFF
	s_cmp_lt_u32 s82, s66                                      // 000000008E30: BF0A4252
	s_cselect_b32 s21, s36, s60                                // 000000008E34: 85153C24
	s_mov_b64 exec, s[20:21]                                   // 000000008E38: BEFE0114
	global_atomic_add_f32 v6, v152, s[8:9]                     // 000000008E3C: DD348000 00089806
	global_atomic_add_f32 v6, v156, s[8:9] offset:256          // 000000008E44: DD348100 00089C06
	global_atomic_add_f32 v6, v160, s[8:9] offset:512          // 000000008E4C: DD348200 0008A006
	global_atomic_add_f32 v6, v164, s[8:9] offset:768          // 000000008E54: DD348300 0008A406
	global_atomic_add_f32 v6, v168, s[8:9] offset:1024         // 000000008E5C: DD348400 0008A806
	global_atomic_add_f32 v6, v172, s[8:9] offset:1280         // 000000008E64: DD348500 0008AC06
	global_atomic_add_f32 v6, v176, s[8:9] offset:1536         // 000000008E6C: DD348600 0008B006
	global_atomic_add_f32 v6, v180, s[8:9] offset:1792         // 000000008E74: DD348700 0008B406
	s_mov_b64 exec, s[36:37]                                   // 000000008E7C: BEFE0124
	v_mov_b32_e32 v6, v42                                      // 000000008E80: 7E0C032A
	s_mov_b64 s[60:61], 0                                      // 000000008E84: BEBC0180
	v_readlane_b32 s82, v3, 2                                  // 000000008E88: D2890052 00010503
	s_and_b32 s82, s82, 0xffffff                               // 000000008E90: 8652FF52 00FFFFFF
	s_cmp_lt_u32 s82, s66                                      // 000000008E98: BF0A4252
	s_cselect_b32 s20, s36, s60                                // 000000008E9C: 85143C24
	v_readlane_b32 s82, v3, 3                                  // 000000008EA0: D2890052 00010703
	s_and_b32 s82, s82, 0xffffff                               // 000000008EA8: 8652FF52 00FFFFFF
	s_cmp_lt_u32 s82, s66                                      // 000000008EB0: BF0A4252
	s_cselect_b32 s21, s36, s60                                // 000000008EB4: 85153C24
	s_mov_b64 exec, s[20:21]                                   // 000000008EB8: BEFE0114
	global_atomic_add_f32 v6, v153, s[8:9]                     // 000000008EBC: DD348000 00089906
	global_atomic_add_f32 v6, v157, s[8:9] offset:256          // 000000008EC4: DD348100 00089D06
	global_atomic_add_f32 v6, v161, s[8:9] offset:512          // 000000008ECC: DD348200 0008A106
	global_atomic_add_f32 v6, v165, s[8:9] offset:768          // 000000008ED4: DD348300 0008A506
	global_atomic_add_f32 v6, v169, s[8:9] offset:1024         // 000000008EDC: DD348400 0008A906
	global_atomic_add_f32 v6, v173, s[8:9] offset:1280         // 000000008EE4: DD348500 0008AD06
	global_atomic_add_f32 v6, v177, s[8:9] offset:1536         // 000000008EEC: DD348600 0008B106
	global_atomic_add_f32 v6, v181, s[8:9] offset:1792         // 000000008EF4: DD348700 0008B506
	s_mov_b64 exec, s[36:37]                                   // 000000008EFC: BEFE0124
	v_mov_b32_e32 v6, v43                                      // 000000008F00: 7E0C032B
	s_mov_b64 s[60:61], 0                                      // 000000008F04: BEBC0180
	v_readlane_b32 s82, v3, 4                                  // 000000008F08: D2890052 00010903
	s_and_b32 s82, s82, 0xffffff                               // 000000008F10: 8652FF52 00FFFFFF
	s_cmp_lt_u32 s82, s66                                      // 000000008F18: BF0A4252
	s_cselect_b32 s20, s36, s60                                // 000000008F1C: 85143C24
	v_readlane_b32 s82, v3, 5                                  // 000000008F20: D2890052 00010B03
	s_and_b32 s82, s82, 0xffffff                               // 000000008F28: 8652FF52 00FFFFFF
	s_cmp_lt_u32 s82, s66                                      // 000000008F30: BF0A4252
	s_cselect_b32 s21, s36, s60                                // 000000008F34: 85153C24
	s_mov_b64 exec, s[20:21]                                   // 000000008F38: BEFE0114
	global_atomic_add_f32 v6, v184, s[8:9]                     // 000000008F3C: DD348000 0008B806
	global_atomic_add_f32 v6, v188, s[8:9] offset:256          // 000000008F44: DD348100 0008BC06
	global_atomic_add_f32 v6, v192, s[8:9] offset:512          // 000000008F4C: DD348200 0008C006
	global_atomic_add_f32 v6, v196, s[8:9] offset:768          // 000000008F54: DD348300 0008C406
	global_atomic_add_f32 v6, v200, s[8:9] offset:1024         // 000000008F5C: DD348400 0008C806
	global_atomic_add_f32 v6, v204, s[8:9] offset:1280         // 000000008F64: DD348500 0008CC06
	global_atomic_add_f32 v6, v208, s[8:9] offset:1536         // 000000008F6C: DD348600 0008D006
	global_atomic_add_f32 v6, v212, s[8:9] offset:1792         // 000000008F74: DD348700 0008D406
	s_mov_b64 exec, s[36:37]                                   // 000000008F7C: BEFE0124
	v_mov_b32_e32 v6, v44                                      // 000000008F80: 7E0C032C
	s_mov_b64 s[60:61], 0                                      // 000000008F84: BEBC0180
	v_readlane_b32 s82, v3, 6                                  // 000000008F88: D2890052 00010D03
	s_and_b32 s82, s82, 0xffffff                               // 000000008F90: 8652FF52 00FFFFFF
	s_cmp_lt_u32 s82, s66                                      // 000000008F98: BF0A4252
	s_cselect_b32 s20, s36, s60                                // 000000008F9C: 85143C24
	v_readlane_b32 s82, v3, 7                                  // 000000008FA0: D2890052 00010F03
	s_and_b32 s82, s82, 0xffffff                               // 000000008FA8: 8652FF52 00FFFFFF
	s_cmp_lt_u32 s82, s66                                      // 000000008FB0: BF0A4252
	s_cselect_b32 s21, s36, s60                                // 000000008FB4: 85153C24
	s_mov_b64 exec, s[20:21]                                   // 000000008FB8: BEFE0114
	global_atomic_add_f32 v6, v185, s[8:9]                     // 000000008FBC: DD348000 0008B906
	global_atomic_add_f32 v6, v189, s[8:9] offset:256          // 000000008FC4: DD348100 0008BD06
	global_atomic_add_f32 v6, v193, s[8:9] offset:512          // 000000008FCC: DD348200 0008C106
	global_atomic_add_f32 v6, v197, s[8:9] offset:768          // 000000008FD4: DD348300 0008C506
	global_atomic_add_f32 v6, v201, s[8:9] offset:1024         // 000000008FDC: DD348400 0008C906
	global_atomic_add_f32 v6, v205, s[8:9] offset:1280         // 000000008FE4: DD348500 0008CD06
	global_atomic_add_f32 v6, v209, s[8:9] offset:1536         // 000000008FEC: DD348600 0008D106
	global_atomic_add_f32 v6, v213, s[8:9] offset:1792         // 000000008FF4: DD348700 0008D506
	s_mov_b64 exec, s[36:37]                                   // 000000008FFC: BEFE0124
	v_mov_b32_e32 v6, v45                                      // 000000009000: 7E0C032D
	s_mov_b64 s[60:61], 0                                      // 000000009004: BEBC0180
	v_readlane_b32 s82, v3, 8                                  // 000000009008: D2890052 00011103
	s_and_b32 s82, s82, 0xffffff                               // 000000009010: 8652FF52 00FFFFFF
	s_cmp_lt_u32 s82, s66                                      // 000000009018: BF0A4252
	s_cselect_b32 s20, s36, s60                                // 00000000901C: 85143C24
	v_readlane_b32 s82, v3, 9                                  // 000000009020: D2890052 00011303
	s_and_b32 s82, s82, 0xffffff                               // 000000009028: 8652FF52 00FFFFFF
	s_cmp_lt_u32 s82, s66                                      // 000000009030: BF0A4252
	s_cselect_b32 s21, s36, s60                                // 000000009034: 85153C24
	s_mov_b64 exec, s[20:21]                                   // 000000009038: BEFE0114
	global_atomic_add_f32 v6, v216, s[8:9]                     // 00000000903C: DD348000 0008D806
	global_atomic_add_f32 v6, v220, s[8:9] offset:256          // 000000009044: DD348100 0008DC06
	global_atomic_add_f32 v6, v224, s[8:9] offset:512          // 00000000904C: DD348200 0008E006
	global_atomic_add_f32 v6, v228, s[8:9] offset:768          // 000000009054: DD348300 0008E406
	global_atomic_add_f32 v6, v232, s[8:9] offset:1024         // 00000000905C: DD348400 0008E806
	global_atomic_add_f32 v6, v236, s[8:9] offset:1280         // 000000009064: DD348500 0008EC06
	global_atomic_add_f32 v6, v240, s[8:9] offset:1536         // 00000000906C: DD348600 0008F006
	global_atomic_add_f32 v6, v244, s[8:9] offset:1792         // 000000009074: DD348700 0008F406
	s_mov_b64 exec, s[36:37]                                   // 00000000907C: BEFE0124
	v_mov_b32_e32 v6, v46                                      // 000000009080: 7E0C032E
	s_mov_b64 s[60:61], 0                                      // 000000009084: BEBC0180
	v_readlane_b32 s82, v3, 10                                 // 000000009088: D2890052 00011503
	s_and_b32 s82, s82, 0xffffff                               // 000000009090: 8652FF52 00FFFFFF
	s_cmp_lt_u32 s82, s66                                      // 000000009098: BF0A4252
	s_cselect_b32 s20, s36, s60                                // 00000000909C: 85143C24
	v_readlane_b32 s82, v3, 11                                 // 0000000090A0: D2890052 00011703
	s_and_b32 s82, s82, 0xffffff                               // 0000000090A8: 8652FF52 00FFFFFF
	s_cmp_lt_u32 s82, s66                                      // 0000000090B0: BF0A4252
	s_cselect_b32 s21, s36, s60                                // 0000000090B4: 85153C24
	s_mov_b64 exec, s[20:21]                                   // 0000000090B8: BEFE0114
	global_atomic_add_f32 v6, v217, s[8:9]                     // 0000000090BC: DD348000 0008D906
	global_atomic_add_f32 v6, v221, s[8:9] offset:256          // 0000000090C4: DD348100 0008DD06
	global_atomic_add_f32 v6, v225, s[8:9] offset:512          // 0000000090CC: DD348200 0008E106
	global_atomic_add_f32 v6, v229, s[8:9] offset:768          // 0000000090D4: DD348300 0008E506
	global_atomic_add_f32 v6, v233, s[8:9] offset:1024         // 0000000090DC: DD348400 0008E906
	global_atomic_add_f32 v6, v237, s[8:9] offset:1280         // 0000000090E4: DD348500 0008ED06
	global_atomic_add_f32 v6, v241, s[8:9] offset:1536         // 0000000090EC: DD348600 0008F106
	global_atomic_add_f32 v6, v245, s[8:9] offset:1792         // 0000000090F4: DD348700 0008F506
	s_mov_b64 exec, s[36:37]                                   // 0000000090FC: BEFE0124
	ds_write_b64 v20, v[154:155]                               // 000000009100: D89A0000 00009A14
	ds_write_b64 v20, v[158:159] offset:17408                  // 000000009108: D89A4400 00009E14
	ds_write_b64 v20, v[162:163] offset:34816                  // 000000009110: D89A8800 0000A214
	ds_write_b64 v20, v[166:167] offset:2176                   // 000000009118: D89A0880 0000A614
	ds_write_b64 v20, v[170:171] offset:19584                  // 000000009120: D89A4C80 0000AA14
	ds_write_b64 v20, v[174:175] offset:36992                  // 000000009128: D89A9080 0000AE14
	ds_write_b64 v20, v[178:179] offset:4352                   // 000000009130: D89A1100 0000B214
	ds_write_b64 v20, v[182:183] offset:21760                  // 000000009138: D89A5500 0000B614
	ds_write_b64 v20, v[186:187] offset:39168                  // 000000009140: D89A9900 0000BA14
	ds_write_b64 v20, v[190:191] offset:6528                   // 000000009148: D89A1980 0000BE14
	ds_write_b64 v20, v[194:195] offset:23936                  // 000000009150: D89A5D80 0000C214
	ds_write_b64 v20, v[198:199] offset:41344                  // 000000009158: D89AA180 0000C614
	ds_write_b64 v20, v[202:203] offset:8704                   // 000000009160: D89A2200 0000CA14
	ds_write_b64 v20, v[206:207] offset:26112                  // 000000009168: D89A6600 0000CE14
	ds_write_b64 v20, v[210:211] offset:43520                  // 000000009170: D89AAA00 0000D214
	ds_write_b64 v20, v[214:215] offset:10880                  // 000000009178: D89A2A80 0000D614
	ds_write_b64 v20, v[218:219] offset:28288                  // 000000009180: D89A6E80 0000DA14
	ds_write_b64 v20, v[222:223] offset:45696                  // 000000009188: D89AB280 0000DE14
	ds_write_b64 v20, v[226:227] offset:13056                  // 000000009190: D89A3300 0000E214
	ds_write_b64 v20, v[230:231] offset:30464                  // 000000009198: D89A7700 0000E614
	ds_write_b64 v20, v[234:235] offset:47872                  // 0000000091A0: D89ABB00 0000EA14
	ds_write_b64 v20, v[238:239] offset:15232                  // 0000000091A8: D89A3B80 0000EE14
	ds_write_b64 v20, v[242:243] offset:32640                  // 0000000091B0: D89A7F80 0000F214
	ds_write_b64 v20, v[246:247] offset:50048                  // 0000000091B8: D89AC380 0000F614
	s_waitcnt lgkmcnt(0)                                       // 0000000091C0: BF8CC07F
	s_barrier                                                  // 0000000091C4: BF8A0000
	ds_read_b32 v154, v21                                      // 0000000091C8: D86C0000 9A000015
	ds_read_b32 v155, v21 offset:64                            // 0000000091D0: D86C0040 9B000015
	ds_read_b32 v158, v21 offset:2176                          // 0000000091D8: D86C0880 9E000015
	ds_read_b32 v159, v21 offset:2240                          // 0000000091E0: D86C08C0 9F000015
	ds_read_b32 v162, v21 offset:4352                          // 0000000091E8: D86C1100 A2000015
	ds_read_b32 v163, v21 offset:4416                          // 0000000091F0: D86C1140 A3000015
	ds_read_b32 v166, v21 offset:6528                          // 0000000091F8: D86C1980 A6000015
	ds_read_b32 v167, v21 offset:6592                          // 000000009200: D86C19C0 A7000015
	ds_read_b32 v170, v21 offset:8704                          // 000000009208: D86C2200 AA000015
	ds_read_b32 v171, v21 offset:8768                          // 000000009210: D86C2240 AB000015
	ds_read_b32 v174, v21 offset:10880                         // 000000009218: D86C2A80 AE000015
	ds_read_b32 v175, v21 offset:10944                         // 000000009220: D86C2AC0 AF000015
	ds_read_b32 v178, v21 offset:13056                         // 000000009228: D86C3300 B2000015
	ds_read_b32 v179, v21 offset:13120                         // 000000009230: D86C3340 B3000015
	ds_read_b32 v182, v21 offset:15232                         // 000000009238: D86C3B80 B6000015
	ds_read_b32 v183, v21 offset:15296                         // 000000009240: D86C3BC0 B7000015
	ds_read_b32 v186, v21 offset:17408                         // 000000009248: D86C4400 BA000015
	ds_read_b32 v187, v21 offset:17472                         // 000000009250: D86C4440 BB000015
	ds_read_b32 v190, v21 offset:19584                         // 000000009258: D86C4C80 BE000015
	ds_read_b32 v191, v21 offset:19648                         // 000000009260: D86C4CC0 BF000015
	ds_read_b32 v194, v21 offset:21760                         // 000000009268: D86C5500 C2000015
	ds_read_b32 v195, v21 offset:21824                         // 000000009270: D86C5540 C3000015
	ds_read_b32 v198, v21 offset:23936                         // 000000009278: D86C5D80 C6000015
	ds_read_b32 v199, v21 offset:24000                         // 000000009280: D86C5DC0 C7000015
	ds_read_b32 v202, v21 offset:26112                         // 000000009288: D86C6600 CA000015
	ds_read_b32 v203, v21 offset:26176                         // 000000009290: D86C6640 CB000015
	ds_read_b32 v206, v21 offset:28288                         // 000000009298: D86C6E80 CE000015
	ds_read_b32 v207, v21 offset:28352                         // 0000000092A0: D86C6EC0 CF000015
	ds_read_b32 v210, v21 offset:30464                         // 0000000092A8: D86C7700 D2000015
	ds_read_b32 v211, v21 offset:30528                         // 0000000092B0: D86C7740 D3000015
	ds_read_b32 v214, v21 offset:32640                         // 0000000092B8: D86C7F80 D6000015
	ds_read_b32 v215, v21 offset:32704                         // 0000000092C0: D86C7FC0 D7000015
	ds_read_b32 v218, v21 offset:34816                         // 0000000092C8: D86C8800 DA000015
	ds_read_b32 v219, v21 offset:34880                         // 0000000092D0: D86C8840 DB000015
	ds_read_b32 v222, v21 offset:36992                         // 0000000092D8: D86C9080 DE000015
	ds_read_b32 v223, v21 offset:37056                         // 0000000092E0: D86C90C0 DF000015
	ds_read_b32 v226, v21 offset:39168                         // 0000000092E8: D86C9900 E2000015
	ds_read_b32 v227, v21 offset:39232                         // 0000000092F0: D86C9940 E3000015
	ds_read_b32 v230, v21 offset:41344                         // 0000000092F8: D86CA180 E6000015
	ds_read_b32 v231, v21 offset:41408                         // 000000009300: D86CA1C0 E7000015
	ds_read_b32 v234, v21 offset:43520                         // 000000009308: D86CAA00 EA000015
	ds_read_b32 v235, v21 offset:43584                         // 000000009310: D86CAA40 EB000015
	ds_read_b32 v238, v21 offset:45696                         // 000000009318: D86CB280 EE000015
	ds_read_b32 v239, v21 offset:45760                         // 000000009320: D86CB2C0 EF000015
	ds_read_b32 v242, v21 offset:47872                         // 000000009328: D86CBB00 F2000015
	ds_read_b32 v243, v21 offset:47936                         // 000000009330: D86CBB40 F3000015
	ds_read_b32 v246, v21 offset:50048                         // 000000009338: D86CC380 F6000015
	ds_read_b32 v247, v21 offset:50112                         // 000000009340: D86CC3C0 F7000015
	s_waitcnt lgkmcnt(0)                                       // 000000009348: BF8CC07F
	v_mov_b32_e32 v7, 0                                        // 00000000934C: 7E0E0280
	s_mov_b64 exec, s[36:37]                                   // 000000009350: BEFE0124
	v_mov_b32_e32 v6, v41                                      // 000000009354: 7E0C0329
	s_mov_b64 s[60:61], 0                                      // 000000009358: BEBC0180
	v_readlane_b32 s82, v3, 0                                  // 00000000935C: D2890052 00010103
	s_and_b32 s82, s82, 0xffffff                               // 000000009364: 8652FF52 00FFFFFF
	s_cmp_lt_u32 s82, s66                                      // 00000000936C: BF0A4252
	s_cselect_b32 s20, s36, s60                                // 000000009370: 85143C24
	v_readlane_b32 s82, v3, 1                                  // 000000009374: D2890052 00010303
	s_and_b32 s82, s82, 0xffffff                               // 00000000937C: 8652FF52 00FFFFFF
	s_cmp_lt_u32 s82, s66                                      // 000000009384: BF0A4252
	s_cselect_b32 s21, s36, s60                                // 000000009388: 85153C24
	s_mov_b64 exec, s[20:21]                                   // 00000000938C: BEFE0114
	global_atomic_add_f32 v6, v154, s[8:9] offset:8            // 000000009390: DD348008 00089A06
	global_atomic_add_f32 v6, v158, s[8:9] offset:264          // 000000009398: DD348108 00089E06
	global_atomic_add_f32 v6, v162, s[8:9] offset:520          // 0000000093A0: DD348208 0008A206
	global_atomic_add_f32 v6, v166, s[8:9] offset:776          // 0000000093A8: DD348308 0008A606
	global_atomic_add_f32 v6, v170, s[8:9] offset:1032         // 0000000093B0: DD348408 0008AA06
	global_atomic_add_f32 v6, v174, s[8:9] offset:1288         // 0000000093B8: DD348508 0008AE06
	global_atomic_add_f32 v6, v178, s[8:9] offset:1544         // 0000000093C0: DD348608 0008B206
	global_atomic_add_f32 v6, v182, s[8:9] offset:1800         // 0000000093C8: DD348708 0008B606
	s_mov_b64 exec, s[36:37]                                   // 0000000093D0: BEFE0124
	v_mov_b32_e32 v6, v42                                      // 0000000093D4: 7E0C032A
	s_mov_b64 s[60:61], 0                                      // 0000000093D8: BEBC0180
	v_readlane_b32 s82, v3, 2                                  // 0000000093DC: D2890052 00010503
	s_and_b32 s82, s82, 0xffffff                               // 0000000093E4: 8652FF52 00FFFFFF
	s_cmp_lt_u32 s82, s66                                      // 0000000093EC: BF0A4252
	s_cselect_b32 s20, s36, s60                                // 0000000093F0: 85143C24
	v_readlane_b32 s82, v3, 3                                  // 0000000093F4: D2890052 00010703
	s_and_b32 s82, s82, 0xffffff                               // 0000000093FC: 8652FF52 00FFFFFF
	s_cmp_lt_u32 s82, s66                                      // 000000009404: BF0A4252
	s_cselect_b32 s21, s36, s60                                // 000000009408: 85153C24
	s_mov_b64 exec, s[20:21]                                   // 00000000940C: BEFE0114
	global_atomic_add_f32 v6, v155, s[8:9] offset:8            // 000000009410: DD348008 00089B06
	global_atomic_add_f32 v6, v159, s[8:9] offset:264          // 000000009418: DD348108 00089F06
	global_atomic_add_f32 v6, v163, s[8:9] offset:520          // 000000009420: DD348208 0008A306
	global_atomic_add_f32 v6, v167, s[8:9] offset:776          // 000000009428: DD348308 0008A706
	global_atomic_add_f32 v6, v171, s[8:9] offset:1032         // 000000009430: DD348408 0008AB06
	global_atomic_add_f32 v6, v175, s[8:9] offset:1288         // 000000009438: DD348508 0008AF06
	global_atomic_add_f32 v6, v179, s[8:9] offset:1544         // 000000009440: DD348608 0008B306
	global_atomic_add_f32 v6, v183, s[8:9] offset:1800         // 000000009448: DD348708 0008B706
	s_mov_b64 exec, s[36:37]                                   // 000000009450: BEFE0124
	v_mov_b32_e32 v6, v43                                      // 000000009454: 7E0C032B
	s_mov_b64 s[60:61], 0                                      // 000000009458: BEBC0180
	v_readlane_b32 s82, v3, 4                                  // 00000000945C: D2890052 00010903
	s_and_b32 s82, s82, 0xffffff                               // 000000009464: 8652FF52 00FFFFFF
	s_cmp_lt_u32 s82, s66                                      // 00000000946C: BF0A4252
	s_cselect_b32 s20, s36, s60                                // 000000009470: 85143C24
	v_readlane_b32 s82, v3, 5                                  // 000000009474: D2890052 00010B03
	s_and_b32 s82, s82, 0xffffff                               // 00000000947C: 8652FF52 00FFFFFF
	s_cmp_lt_u32 s82, s66                                      // 000000009484: BF0A4252
	s_cselect_b32 s21, s36, s60                                // 000000009488: 85153C24
	s_mov_b64 exec, s[20:21]                                   // 00000000948C: BEFE0114
	global_atomic_add_f32 v6, v186, s[8:9] offset:8            // 000000009490: DD348008 0008BA06
	global_atomic_add_f32 v6, v190, s[8:9] offset:264          // 000000009498: DD348108 0008BE06
	global_atomic_add_f32 v6, v194, s[8:9] offset:520          // 0000000094A0: DD348208 0008C206
	global_atomic_add_f32 v6, v198, s[8:9] offset:776          // 0000000094A8: DD348308 0008C606
	global_atomic_add_f32 v6, v202, s[8:9] offset:1032         // 0000000094B0: DD348408 0008CA06
	global_atomic_add_f32 v6, v206, s[8:9] offset:1288         // 0000000094B8: DD348508 0008CE06
	global_atomic_add_f32 v6, v210, s[8:9] offset:1544         // 0000000094C0: DD348608 0008D206
	global_atomic_add_f32 v6, v214, s[8:9] offset:1800         // 0000000094C8: DD348708 0008D606
	s_mov_b64 exec, s[36:37]                                   // 0000000094D0: BEFE0124
	v_mov_b32_e32 v6, v44                                      // 0000000094D4: 7E0C032C
	s_mov_b64 s[60:61], 0                                      // 0000000094D8: BEBC0180
	v_readlane_b32 s82, v3, 6                                  // 0000000094DC: D2890052 00010D03
	s_and_b32 s82, s82, 0xffffff                               // 0000000094E4: 8652FF52 00FFFFFF
	s_cmp_lt_u32 s82, s66                                      // 0000000094EC: BF0A4252
	s_cselect_b32 s20, s36, s60                                // 0000000094F0: 85143C24
	v_readlane_b32 s82, v3, 7                                  // 0000000094F4: D2890052 00010F03
	s_and_b32 s82, s82, 0xffffff                               // 0000000094FC: 8652FF52 00FFFFFF
	s_cmp_lt_u32 s82, s66                                      // 000000009504: BF0A4252
	s_cselect_b32 s21, s36, s60                                // 000000009508: 85153C24
	s_mov_b64 exec, s[20:21]                                   // 00000000950C: BEFE0114
	global_atomic_add_f32 v6, v187, s[8:9] offset:8            // 000000009510: DD348008 0008BB06
	global_atomic_add_f32 v6, v191, s[8:9] offset:264          // 000000009518: DD348108 0008BF06
	global_atomic_add_f32 v6, v195, s[8:9] offset:520          // 000000009520: DD348208 0008C306
	global_atomic_add_f32 v6, v199, s[8:9] offset:776          // 000000009528: DD348308 0008C706
	global_atomic_add_f32 v6, v203, s[8:9] offset:1032         // 000000009530: DD348408 0008CB06
	global_atomic_add_f32 v6, v207, s[8:9] offset:1288         // 000000009538: DD348508 0008CF06
	global_atomic_add_f32 v6, v211, s[8:9] offset:1544         // 000000009540: DD348608 0008D306
	global_atomic_add_f32 v6, v215, s[8:9] offset:1800         // 000000009548: DD348708 0008D706
	s_mov_b64 exec, s[36:37]                                   // 000000009550: BEFE0124
	v_mov_b32_e32 v6, v45                                      // 000000009554: 7E0C032D
	s_mov_b64 s[60:61], 0                                      // 000000009558: BEBC0180
	v_readlane_b32 s82, v3, 8                                  // 00000000955C: D2890052 00011103
	s_and_b32 s82, s82, 0xffffff                               // 000000009564: 8652FF52 00FFFFFF
	s_cmp_lt_u32 s82, s66                                      // 00000000956C: BF0A4252
	s_cselect_b32 s20, s36, s60                                // 000000009570: 85143C24
	v_readlane_b32 s82, v3, 9                                  // 000000009574: D2890052 00011303
	s_and_b32 s82, s82, 0xffffff                               // 00000000957C: 8652FF52 00FFFFFF
	s_cmp_lt_u32 s82, s66                                      // 000000009584: BF0A4252
	s_cselect_b32 s21, s36, s60                                // 000000009588: 85153C24
	s_mov_b64 exec, s[20:21]                                   // 00000000958C: BEFE0114
	global_atomic_add_f32 v6, v218, s[8:9] offset:8            // 000000009590: DD348008 0008DA06
	global_atomic_add_f32 v6, v222, s[8:9] offset:264          // 000000009598: DD348108 0008DE06
	global_atomic_add_f32 v6, v226, s[8:9] offset:520          // 0000000095A0: DD348208 0008E206
	global_atomic_add_f32 v6, v230, s[8:9] offset:776          // 0000000095A8: DD348308 0008E606
	global_atomic_add_f32 v6, v234, s[8:9] offset:1032         // 0000000095B0: DD348408 0008EA06
	global_atomic_add_f32 v6, v238, s[8:9] offset:1288         // 0000000095B8: DD348508 0008EE06
	global_atomic_add_f32 v6, v242, s[8:9] offset:1544         // 0000000095C0: DD348608 0008F206
	global_atomic_add_f32 v6, v246, s[8:9] offset:1800         // 0000000095C8: DD348708 0008F606
	s_mov_b64 exec, s[36:37]                                   // 0000000095D0: BEFE0124
	v_mov_b32_e32 v6, v46                                      // 0000000095D4: 7E0C032E
	s_mov_b64 s[60:61], 0                                      // 0000000095D8: BEBC0180
	v_readlane_b32 s82, v3, 10                                 // 0000000095DC: D2890052 00011503
	s_and_b32 s82, s82, 0xffffff                               // 0000000095E4: 8652FF52 00FFFFFF
	s_cmp_lt_u32 s82, s66                                      // 0000000095EC: BF0A4252
	s_cselect_b32 s20, s36, s60                                // 0000000095F0: 85143C24
	v_readlane_b32 s82, v3, 11                                 // 0000000095F4: D2890052 00011703
	s_and_b32 s82, s82, 0xffffff                               // 0000000095FC: 8652FF52 00FFFFFF
	s_cmp_lt_u32 s82, s66                                      // 000000009604: BF0A4252
	s_cselect_b32 s21, s36, s60                                // 000000009608: 85153C24
	s_mov_b64 exec, s[20:21]                                   // 00000000960C: BEFE0114
	global_atomic_add_f32 v6, v219, s[8:9] offset:8            // 000000009610: DD348008 0008DB06
	global_atomic_add_f32 v6, v223, s[8:9] offset:264          // 000000009618: DD348108 0008DF06
	global_atomic_add_f32 v6, v227, s[8:9] offset:520          // 000000009620: DD348208 0008E306
	global_atomic_add_f32 v6, v231, s[8:9] offset:776          // 000000009628: DD348308 0008E706
	global_atomic_add_f32 v6, v235, s[8:9] offset:1032         // 000000009630: DD348408 0008EB06
	global_atomic_add_f32 v6, v239, s[8:9] offset:1288         // 000000009638: DD348508 0008EF06
	global_atomic_add_f32 v6, v243, s[8:9] offset:1544         // 000000009640: DD348608 0008F306
	global_atomic_add_f32 v6, v247, s[8:9] offset:1800         // 000000009648: DD348708 0008F706
	s_mov_b64 exec, s[36:37]                                   // 000000009650: BEFE0124
	s_branch label_3369                                        // 000000009654: BF821850

0000000000009658 <label_1B19>:
	s_waitcnt vmcnt(14) lgkmcnt(0)                             // 000000009658: BF8C007E
	s_barrier                                                  // 00000000965C: BF8A0000
	v_mfma_i32_16x16x32_i8 v[56:59], a[48:49], a[0:1], v[56:59]// 000000009660: D3D70038 1CE20130
	buffer_load_dwordx4 a[112:115], v47, s[84:87], 0 offen     // 000000009668: E05C1000 8095702F
	v_mfma_i32_16x16x32_i8 v[56:59], a[50:51], a[2:3], v[56:59]// 000000009670: D3D70038 1CE20532
	v_mfma_i32_16x16x32_i8 v[56:59], a[52:53], a[4:5], v[56:59]// 000000009678: D3D70038 1CE20934
	v_mfma_i32_16x16x32_i8 v[56:59], a[54:55], a[6:7], v[56:59]// 000000009680: D3D70038 1CE20D36
	v_mfma_i32_16x16x32_i8 v[60:63], a[48:49], a[8:9], v[60:63]// 000000009688: D3D7003C 1CF21130
	buffer_load_dwordx4 a[116:119], v47, s[84:87], 0 offen offset:1024// 000000009690: E05C1400 8095742F
	v_mfma_i32_16x16x32_i8 v[60:63], a[50:51], a[10:11], v[60:63]// 000000009698: D3D7003C 1CF21532
	v_mfma_i32_16x16x32_i8 v[60:63], a[52:53], a[12:13], v[60:63]// 0000000096A0: D3D7003C 1CF21934
	v_mfma_i32_16x16x32_i8 v[60:63], a[54:55], a[14:15], v[60:63]// 0000000096A8: D3D7003C 1CF21D36
	v_mfma_i32_16x16x32_i8 v[64:67], a[48:49], a[16:17], v[64:67]// 0000000096B0: D3D70040 1D022130
	buffer_load_dwordx4 a[120:123], v48, s[84:87], 0 offen     // 0000000096B8: E05C1000 80957830
	v_mfma_i32_16x16x32_i8 v[64:67], a[50:51], a[18:19], v[64:67]// 0000000096C0: D3D70040 1D022532
	v_mfma_i32_16x16x32_i8 v[64:67], a[52:53], a[20:21], v[64:67]// 0000000096C8: D3D70040 1D022934
	v_mfma_i32_16x16x32_i8 v[64:67], a[54:55], a[22:23], v[64:67]// 0000000096D0: D3D70040 1D022D36
	s_waitcnt vmcnt(15)                                        // 0000000096D8: BF8C0F7F
	v_mfma_i32_16x16x32_i8 v[68:71], a[56:57], a[0:1], v[68:71]// 0000000096DC: D3D70044 1D120138
	buffer_load_dwordx4 a[124:127], v48, s[84:87], 0 offen offset:1024// 0000000096E4: E05C1400 80957C30
	v_mfma_i32_16x16x32_i8 v[68:71], a[58:59], a[2:3], v[68:71]// 0000000096EC: D3D70044 1D12053A
	v_mfma_i32_16x16x32_i8 v[68:71], a[60:61], a[4:5], v[68:71]// 0000000096F4: D3D70044 1D12093C
	v_mfma_i32_16x16x32_i8 v[68:71], a[62:63], a[6:7], v[68:71]// 0000000096FC: D3D70044 1D120D3E
	v_mfma_i32_16x16x32_i8 v[72:75], a[56:57], a[8:9], v[72:75]// 000000009704: D3D70048 1D221138
	buffer_load_dwordx4 a[128:131], v49, s[84:87], 0 offen     // 00000000970C: E05C1000 80958031
	v_mfma_i32_16x16x32_i8 v[72:75], a[58:59], a[10:11], v[72:75]// 000000009714: D3D70048 1D22153A
	v_mfma_i32_16x16x32_i8 v[72:75], a[60:61], a[12:13], v[72:75]// 00000000971C: D3D70048 1D22193C
	v_mfma_i32_16x16x32_i8 v[72:75], a[62:63], a[14:15], v[72:75]// 000000009724: D3D70048 1D221D3E
	v_mfma_i32_16x16x32_i8 v[76:79], a[56:57], a[16:17], v[76:79]// 00000000972C: D3D7004C 1D322138
	buffer_load_dwordx4 a[132:135], v49, s[84:87], 0 offen offset:1024// 000000009734: E05C1400 80958431
	v_mfma_i32_16x16x32_i8 v[76:79], a[58:59], a[18:19], v[76:79]// 00000000973C: D3D7004C 1D32253A
	v_mfma_i32_16x16x32_i8 v[76:79], a[60:61], a[20:21], v[76:79]// 000000009744: D3D7004C 1D32293C
	v_mfma_i32_16x16x32_i8 v[76:79], a[62:63], a[22:23], v[76:79]// 00000000974C: D3D7004C 1D322D3E
	s_waitcnt vmcnt(16)                                        // 000000009754: BF8C4F70
	v_mfma_i32_16x16x32_i8 v[80:83], a[64:65], a[0:1], v[80:83]// 000000009758: D3D70050 1D420140
	buffer_load_dwordx4 a[136:139], v50, s[84:87], 0 offen     // 000000009760: E05C1000 80958832
	v_mfma_i32_16x16x32_i8 v[80:83], a[66:67], a[2:3], v[80:83]// 000000009768: D3D70050 1D420542
	v_mfma_i32_16x16x32_i8 v[80:83], a[68:69], a[4:5], v[80:83]// 000000009770: D3D70050 1D420944
	v_mfma_i32_16x16x32_i8 v[80:83], a[70:71], a[6:7], v[80:83]// 000000009778: D3D70050 1D420D46
	v_mfma_i32_16x16x32_i8 v[84:87], a[64:65], a[8:9], v[84:87]// 000000009780: D3D70054 1D521140
	buffer_load_dwordx4 a[140:143], v50, s[84:87], 0 offen offset:1024// 000000009788: E05C1400 80958C32
	v_mfma_i32_16x16x32_i8 v[84:87], a[66:67], a[10:11], v[84:87]// 000000009790: D3D70054 1D521542
	v_mfma_i32_16x16x32_i8 v[84:87], a[68:69], a[12:13], v[84:87]// 000000009798: D3D70054 1D521944
	v_mfma_i32_16x16x32_i8 v[84:87], a[70:71], a[14:15], v[84:87]// 0000000097A0: D3D70054 1D521D46
	v_mfma_i32_16x16x32_i8 v[88:91], a[64:65], a[16:17], v[88:91]// 0000000097A8: D3D70058 1D622140
	buffer_load_dwordx4 a[144:147], v51, s[84:87], 0 offen     // 0000000097B0: E05C1000 80959033
	v_mfma_i32_16x16x32_i8 v[88:91], a[66:67], a[18:19], v[88:91]// 0000000097B8: D3D70058 1D622542
	v_mfma_i32_16x16x32_i8 v[88:91], a[68:69], a[20:21], v[88:91]// 0000000097C0: D3D70058 1D622944
	v_mfma_i32_16x16x32_i8 v[88:91], a[70:71], a[22:23], v[88:91]// 0000000097C8: D3D70058 1D622D46
	s_waitcnt vmcnt(17)                                        // 0000000097D0: BF8C4F71
	v_mfma_i32_16x16x32_i8 v[92:95], a[72:73], a[0:1], v[92:95]// 0000000097D4: D3D7005C 1D720148
	buffer_load_dwordx4 a[148:151], v51, s[84:87], 0 offen offset:1024// 0000000097DC: E05C1400 80959433
	v_mfma_i32_16x16x32_i8 v[92:95], a[74:75], a[2:3], v[92:95]// 0000000097E4: D3D7005C 1D72054A
	v_mfma_i32_16x16x32_i8 v[92:95], a[76:77], a[4:5], v[92:95]// 0000000097EC: D3D7005C 1D72094C
	v_mfma_i32_16x16x32_i8 v[92:95], a[78:79], a[6:7], v[92:95]// 0000000097F4: D3D7005C 1D720D4E
	v_mfma_i32_16x16x32_i8 v[96:99], a[72:73], a[8:9], v[96:99]// 0000000097FC: D3D70060 1D821148
	buffer_load_dwordx4 a[152:155], v52, s[84:87], 0 offen     // 000000009804: E05C1000 80959834
	v_mfma_i32_16x16x32_i8 v[96:99], a[74:75], a[10:11], v[96:99]// 00000000980C: D3D70060 1D82154A
	v_mfma_i32_16x16x32_i8 v[96:99], a[76:77], a[12:13], v[96:99]// 000000009814: D3D70060 1D82194C
	v_mfma_i32_16x16x32_i8 v[96:99], a[78:79], a[14:15], v[96:99]// 00000000981C: D3D70060 1D821D4E
	v_mfma_i32_16x16x32_i8 v[100:103], a[72:73], a[16:17], v[100:103]// 000000009824: D3D70064 1D922148
	buffer_load_dwordx4 a[156:159], v52, s[84:87], 0 offen offset:1024// 00000000982C: E05C1400 80959C34
	v_mfma_i32_16x16x32_i8 v[100:103], a[74:75], a[18:19], v[100:103]// 000000009834: D3D70064 1D92254A
	v_mfma_i32_16x16x32_i8 v[100:103], a[76:77], a[20:21], v[100:103]// 00000000983C: D3D70064 1D92294C
	v_mfma_i32_16x16x32_i8 v[100:103], a[78:79], a[22:23], v[100:103]// 000000009844: D3D70064 1D922D4E
	s_waitcnt vmcnt(18)                                        // 00000000984C: BF8C4F72
	v_mfma_i32_16x16x32_i8 v[104:107], a[80:81], a[0:1], v[104:107]// 000000009850: D3D70068 1DA20150
	buffer_load_dwordx4 a[160:163], v53, s[84:87], 0 offen     // 000000009858: E05C1000 8095A035
	v_mfma_i32_16x16x32_i8 v[104:107], a[82:83], a[2:3], v[104:107]// 000000009860: D3D70068 1DA20552
	v_mfma_i32_16x16x32_i8 v[104:107], a[84:85], a[4:5], v[104:107]// 000000009868: D3D70068 1DA20954
	v_mfma_i32_16x16x32_i8 v[104:107], a[86:87], a[6:7], v[104:107]// 000000009870: D3D70068 1DA20D56
	v_mfma_i32_16x16x32_i8 v[108:111], a[80:81], a[8:9], v[108:111]// 000000009878: D3D7006C 1DB21150
	buffer_load_dwordx4 a[164:167], v53, s[84:87], 0 offen offset:1024// 000000009880: E05C1400 8095A435
	v_mfma_i32_16x16x32_i8 v[108:111], a[82:83], a[10:11], v[108:111]// 000000009888: D3D7006C 1DB21552
	v_mfma_i32_16x16x32_i8 v[108:111], a[84:85], a[12:13], v[108:111]// 000000009890: D3D7006C 1DB21954
	v_mfma_i32_16x16x32_i8 v[108:111], a[86:87], a[14:15], v[108:111]// 000000009898: D3D7006C 1DB21D56
	v_mfma_i32_16x16x32_i8 v[112:115], a[80:81], a[16:17], v[112:115]// 0000000098A0: D3D70070 1DC22150
	buffer_load_dwordx4 a[168:171], v54, s[84:87], 0 offen     // 0000000098A8: E05C1000 8095A836
	v_mfma_i32_16x16x32_i8 v[112:115], a[82:83], a[18:19], v[112:115]// 0000000098B0: D3D70070 1DC22552
	v_mfma_i32_16x16x32_i8 v[112:115], a[84:85], a[20:21], v[112:115]// 0000000098B8: D3D70070 1DC22954
	v_mfma_i32_16x16x32_i8 v[112:115], a[86:87], a[22:23], v[112:115]// 0000000098C0: D3D70070 1DC22D56
	s_waitcnt vmcnt(19)                                        // 0000000098C8: BF8C4F73
	v_mfma_i32_16x16x32_i8 v[116:119], a[88:89], a[0:1], v[116:119]// 0000000098CC: D3D70074 1DD20158
	buffer_load_dwordx4 a[172:175], v54, s[84:87], 0 offen offset:1024// 0000000098D4: E05C1400 8095AC36
	buffer_load_dword v41, s[20:23], 0 offen lds               // 0000000098DC: E0511000 80050029
	s_add_u32 m0, 0x100, s48                                   // 0000000098E4: 807C30FF 00000100
	v_mfma_i32_16x16x32_i8 v[116:119], a[90:91], a[2:3], v[116:119]// 0000000098EC: D3D70074 1DD2055A
	v_mfma_i32_16x16x32_i8 v[116:119], a[92:93], a[4:5], v[116:119]// 0000000098F4: D3D70074 1DD2095C
	buffer_load_dword v42, s[20:23], 0 offen lds               // 0000000098FC: E0511000 8005002A
	s_add_u32 m0, 0x200, s48                                   // 000000009904: 807C30FF 00000200
	v_mfma_i32_16x16x32_i8 v[116:119], a[94:95], a[6:7], v[116:119]// 00000000990C: D3D70074 1DD20D5E
	v_mfma_i32_16x16x32_i8 v[120:123], a[88:89], a[8:9], v[120:123]// 000000009914: D3D70078 1DE21158
	buffer_load_dword v43, s[20:23], 0 offen lds               // 00000000991C: E0511000 8005002B
	s_add_u32 m0, 0x300, s48                                   // 000000009924: 807C30FF 00000300
	v_mfma_i32_16x16x32_i8 v[120:123], a[90:91], a[10:11], v[120:123]// 00000000992C: D3D70078 1DE2155A
	v_mfma_i32_16x16x32_i8 v[120:123], a[92:93], a[12:13], v[120:123]// 000000009934: D3D70078 1DE2195C
	buffer_load_dword v44, s[20:23], 0 offen lds               // 00000000993C: E0511000 8005002C
	s_add_u32 m0, 0x400, s48                                   // 000000009944: 807C30FF 00000400
	v_mfma_i32_16x16x32_i8 v[120:123], a[94:95], a[14:15], v[120:123]// 00000000994C: D3D70078 1DE21D5E
	v_mfma_i32_16x16x32_i8 v[124:127], a[88:89], a[16:17], v[124:127]// 000000009954: D3D7007C 1DF22158
	buffer_load_dword v45, s[20:23], 0 offen lds               // 00000000995C: E0511000 8005002D
	s_add_u32 m0, 0x500, s48                                   // 000000009964: 807C30FF 00000500
	v_mfma_i32_16x16x32_i8 v[124:127], a[90:91], a[18:19], v[124:127]// 00000000996C: D3D7007C 1DF2255A
	v_mfma_i32_16x16x32_i8 v[124:127], a[92:93], a[20:21], v[124:127]// 000000009974: D3D7007C 1DF2295C
	buffer_load_dword v46, s[20:23], 0 offen lds               // 00000000997C: E0511000 8005002E
	s_add_u32 m0, 0, s49                                       // 000000009984: 807C3180
	v_mfma_i32_16x16x32_i8 v[124:127], a[94:95], a[22:23], v[124:127]// 000000009988: D3D7007C 1DF22D5E
	s_waitcnt vmcnt(24)                                        // 000000009990: BF8C4F78
	v_mfma_i32_16x16x32_i8 v[128:131], a[96:97], a[0:1], v[128:131]// 000000009994: D3D70080 1E020160
	v_mfma_i32_16x16x32_i8 v[128:131], a[98:99], a[2:3], v[128:131]// 00000000999C: D3D70080 1E020562
	v_mfma_i32_16x16x32_i8 v[128:131], a[100:101], a[4:5], v[128:131]// 0000000099A4: D3D70080 1E020964
	v_mfma_i32_16x16x32_i8 v[128:131], a[102:103], a[6:7], v[128:131]// 0000000099AC: D3D70080 1E020D66
	v_mfma_i32_16x16x32_i8 v[132:135], a[96:97], a[8:9], v[132:135]// 0000000099B4: D3D70084 1E121160
	v_mfma_i32_16x16x32_i8 v[132:135], a[98:99], a[10:11], v[132:135]// 0000000099BC: D3D70084 1E121562
	v_mfma_i32_16x16x32_i8 v[132:135], a[100:101], a[12:13], v[132:135]// 0000000099C4: D3D70084 1E121964
	v_mfma_i32_16x16x32_i8 v[132:135], a[102:103], a[14:15], v[132:135]// 0000000099CC: D3D70084 1E121D66
	v_mfma_i32_16x16x32_i8 v[136:139], a[96:97], a[16:17], v[136:139]// 0000000099D4: D3D70088 1E222160
	v_mfma_i32_16x16x32_i8 v[136:139], a[98:99], a[18:19], v[136:139]// 0000000099DC: D3D70088 1E222562
	v_mfma_i32_16x16x32_i8 v[136:139], a[100:101], a[20:21], v[136:139]// 0000000099E4: D3D70088 1E222964
	v_mfma_i32_16x16x32_i8 v[136:139], a[102:103], a[22:23], v[136:139]// 0000000099EC: D3D70088 1E222D66
	s_waitcnt vmcnt(22)                                        // 0000000099F4: BF8C4F76
	v_mfma_i32_16x16x32_i8 v[140:143], a[104:105], a[0:1], v[140:143]// 0000000099F8: D3D7008C 1E320168
	v_mfma_i32_16x16x32_i8 v[140:143], a[106:107], a[2:3], v[140:143]// 000000009A00: D3D7008C 1E32056A
	v_mfma_i32_16x16x32_i8 v[140:143], a[108:109], a[4:5], v[140:143]// 000000009A08: D3D7008C 1E32096C
	v_mfma_i32_16x16x32_i8 v[140:143], a[110:111], a[6:7], v[140:143]// 000000009A10: D3D7008C 1E320D6E
	v_mfma_i32_16x16x32_i8 v[144:147], a[104:105], a[8:9], v[144:147]// 000000009A18: D3D70090 1E421168
	v_mfma_i32_16x16x32_i8 v[144:147], a[106:107], a[10:11], v[144:147]// 000000009A20: D3D70090 1E42156A
	v_mfma_i32_16x16x32_i8 v[144:147], a[108:109], a[12:13], v[144:147]// 000000009A28: D3D70090 1E42196C
	v_mfma_i32_16x16x32_i8 v[144:147], a[110:111], a[14:15], v[144:147]// 000000009A30: D3D70090 1E421D6E
	v_mfma_i32_16x16x32_i8 v[148:151], a[104:105], a[16:17], v[148:151]// 000000009A38: D3D70094 1E522168
	v_mfma_i32_16x16x32_i8 v[148:151], a[106:107], a[18:19], v[148:151]// 000000009A40: D3D70094 1E52256A
	s_add_u32 s60, 0x80, s80                                   // 000000009A48: 803C50FF 00000080
	s_cmp_lt_u32 s60, s81                                      // 000000009A50: BF0A513C
	s_cselect_b32 s83, s83, 0                                  // 000000009A54: 85538053
	v_mfma_i32_16x16x32_i8 v[148:151], a[108:109], a[20:21], v[148:151]// 000000009A58: D3D70094 1E52296C
	v_mfma_i32_16x16x32_i8 v[148:151], a[110:111], a[22:23], v[148:151]// 000000009A60: D3D70094 1E522D6E
	s_waitcnt vmcnt(6)                                         // 000000009A68: BF8C0F76
	v_mfma_i32_16x16x32_i8 v[152:155], a[112:113], a[0:1], v[152:155]// 000000009A6C: D3D70098 1E620170
	buffer_load_dwordx4 a[48:51], v47, s[24:27], 0 offen       // 000000009A74: E05C1000 8086302F
	v_mfma_i32_16x16x32_i8 v[152:155], a[114:115], a[2:3], v[152:155]// 000000009A7C: D3D70098 1E620572
	v_mfma_i32_16x16x32_i8 v[152:155], a[116:117], a[4:5], v[152:155]// 000000009A84: D3D70098 1E620974
	ds_read_b128 a[24:27], v2 offset:6272                      // 000000009A8C: DBFE1880 18000002
	ds_read_b128 a[28:31], v2 offset:6336                      // 000000009A94: DBFE18C0 1C000002
	v_mfma_i32_16x16x32_i8 v[152:155], a[118:119], a[6:7], v[152:155]// 000000009A9C: D3D70098 1E620D76
	v_mfma_i32_16x16x32_i8 v[164:167], a[120:121], a[0:1], v[164:167]// 000000009AA4: D3D700A4 1E920178
	buffer_load_dwordx4 a[52:55], v47, s[24:27], 0 offen offset:1024// 000000009AAC: E05C1400 8086342F
	v_mfma_i32_16x16x32_i8 v[164:167], a[122:123], a[2:3], v[164:167]// 000000009AB4: D3D700A4 1E92057A
	v_mfma_i32_16x16x32_i8 v[164:167], a[124:125], a[4:5], v[164:167]// 000000009ABC: D3D700A4 1E92097C
	ds_read_b128 a[32:35], v2 offset:6784                      // 000000009AC4: DBFE1A80 20000002
	ds_read_b128 a[36:39], v2 offset:6848                      // 000000009ACC: DBFE1AC0 24000002
	v_mfma_i32_16x16x32_i8 v[164:167], a[126:127], a[6:7], v[164:167]// 000000009AD4: D3D700A4 1E920D7E
	v_mfma_i32_16x16x32_i8 v[176:179], a[128:129], a[0:1], v[176:179]// 000000009ADC: D3D700B0 1EC20180
	buffer_load_dwordx4 a[56:59], v48, s[24:27], 0 offen       // 000000009AE4: E05C1000 80863830
	v_mfma_i32_16x16x32_i8 v[176:179], a[130:131], a[2:3], v[176:179]// 000000009AEC: D3D700B0 1EC20582
	v_mfma_i32_16x16x32_i8 v[176:179], a[132:133], a[4:5], v[176:179]// 000000009AF4: D3D700B0 1EC20984
	ds_read_b128 a[40:43], v2 offset:7296                      // 000000009AFC: DBFE1C80 28000002
	ds_read_b128 a[44:47], v2 offset:7360                      // 000000009B04: DBFE1CC0 2C000002
	v_mfma_i32_16x16x32_i8 v[176:179], a[134:135], a[6:7], v[176:179]// 000000009B0C: D3D700B0 1EC20D86
	v_mfma_i32_16x16x32_i8 v[188:191], a[136:137], a[0:1], v[188:191]// 000000009B14: D3D700BC 1EF20188
	buffer_load_dwordx4 a[60:63], v48, s[24:27], 0 offen offset:1024// 000000009B1C: E05C1400 80863C30
	v_mfma_i32_16x16x32_i8 v[188:191], a[138:139], a[2:3], v[188:191]// 000000009B24: D3D700BC 1EF2058A
	v_mfma_i32_16x16x32_i8 v[188:191], a[140:141], a[4:5], v[188:191]// 000000009B2C: D3D700BC 1EF2098C
	v_mfma_i32_16x16x32_i8 v[188:191], a[142:143], a[6:7], v[188:191]// 000000009B34: D3D700BC 1EF20D8E
	v_mfma_i32_16x16x32_i8 v[200:203], a[144:145], a[0:1], v[200:203]// 000000009B3C: D3D700C8 1F220190
	buffer_load_dwordx4 a[64:67], v49, s[24:27], 0 offen       // 000000009B44: E05C1000 80864031
	v_mfma_i32_16x16x32_i8 v[200:203], a[146:147], a[2:3], v[200:203]// 000000009B4C: D3D700C8 1F220592
	v_mfma_i32_16x16x32_i8 v[200:203], a[148:149], a[4:5], v[200:203]// 000000009B54: D3D700C8 1F220994
	v_mfma_i32_16x16x32_i8 v[200:203], a[150:151], a[6:7], v[200:203]// 000000009B5C: D3D700C8 1F220D96
	v_mfma_i32_16x16x32_i8 v[212:215], a[152:153], a[0:1], v[212:215]// 000000009B64: D3D700D4 1F520198
	buffer_load_dwordx4 a[68:71], v49, s[24:27], 0 offen offset:1024// 000000009B6C: E05C1400 80864431
	v_mfma_i32_16x16x32_i8 v[212:215], a[154:155], a[2:3], v[212:215]// 000000009B74: D3D700D4 1F52059A
	v_mfma_i32_16x16x32_i8 v[212:215], a[156:157], a[4:5], v[212:215]// 000000009B7C: D3D700D4 1F52099C
	v_mfma_i32_16x16x32_i8 v[212:215], a[158:159], a[6:7], v[212:215]// 000000009B84: D3D700D4 1F520D9E
	v_mfma_i32_16x16x32_i8 v[224:227], a[160:161], a[0:1], v[224:227]// 000000009B8C: D3D700E0 1F8201A0
	buffer_load_dwordx4 a[72:75], v50, s[24:27], 0 offen       // 000000009B94: E05C1000 80864832
	v_mfma_i32_16x16x32_i8 v[224:227], a[162:163], a[2:3], v[224:227]// 000000009B9C: D3D700E0 1F8205A2
	v_mfma_i32_16x16x32_i8 v[224:227], a[164:165], a[4:5], v[224:227]// 000000009BA4: D3D700E0 1F8209A4
	v_mfma_i32_16x16x32_i8 v[224:227], a[166:167], a[6:7], v[224:227]// 000000009BAC: D3D700E0 1F820DA6
	v_mfma_i32_16x16x32_i8 v[236:239], a[168:169], a[0:1], v[236:239]// 000000009BB4: D3D700EC 1FB201A8
	buffer_load_dwordx4 a[76:79], v50, s[24:27], 0 offen offset:1024// 000000009BBC: E05C1400 80864C32
	v_mfma_i32_16x16x32_i8 v[236:239], a[170:171], a[2:3], v[236:239]// 000000009BC4: D3D700EC 1FB205AA
	v_mfma_i32_16x16x32_i8 v[236:239], a[172:173], a[4:5], v[236:239]// 000000009BCC: D3D700EC 1FB209AC
	v_mfma_i32_16x16x32_i8 v[236:239], a[174:175], a[6:7], v[236:239]// 000000009BD4: D3D700EC 1FB20DAE
	v_mfma_i32_16x16x32_i8 v[156:159], a[112:113], a[8:9], v[156:159]// 000000009BDC: D3D7009C 1E721170
	buffer_load_dwordx4 a[80:83], v51, s[24:27], 0 offen       // 000000009BE4: E05C1000 80865033
	v_mfma_i32_16x16x32_i8 v[156:159], a[114:115], a[10:11], v[156:159]// 000000009BEC: D3D7009C 1E721572
	v_mfma_i32_16x16x32_i8 v[156:159], a[116:117], a[12:13], v[156:159]// 000000009BF4: D3D7009C 1E721974
	v_mfma_i32_16x16x32_i8 v[156:159], a[118:119], a[14:15], v[156:159]// 000000009BFC: D3D7009C 1E721D76
	v_mfma_i32_16x16x32_i8 v[168:171], a[120:121], a[8:9], v[168:171]// 000000009C04: D3D700A8 1EA21178
	buffer_load_dwordx4 a[84:87], v51, s[24:27], 0 offen offset:1024// 000000009C0C: E05C1400 80865433
	v_mfma_i32_16x16x32_i8 v[168:171], a[122:123], a[10:11], v[168:171]// 000000009C14: D3D700A8 1EA2157A
	v_mfma_i32_16x16x32_i8 v[168:171], a[124:125], a[12:13], v[168:171]// 000000009C1C: D3D700A8 1EA2197C
	v_mfma_i32_16x16x32_i8 v[168:171], a[126:127], a[14:15], v[168:171]// 000000009C24: D3D700A8 1EA21D7E
	v_mfma_i32_16x16x32_i8 v[180:183], a[128:129], a[8:9], v[180:183]// 000000009C2C: D3D700B4 1ED21180
	buffer_load_dwordx4 a[88:91], v52, s[24:27], 0 offen       // 000000009C34: E05C1000 80865834
	v_mfma_i32_16x16x32_i8 v[180:183], a[130:131], a[10:11], v[180:183]// 000000009C3C: D3D700B4 1ED21582
	v_mfma_i32_16x16x32_i8 v[180:183], a[132:133], a[12:13], v[180:183]// 000000009C44: D3D700B4 1ED21984
	v_mfma_i32_16x16x32_i8 v[180:183], a[134:135], a[14:15], v[180:183]// 000000009C4C: D3D700B4 1ED21D86
	v_mfma_i32_16x16x32_i8 v[192:195], a[136:137], a[8:9], v[192:195]// 000000009C54: D3D700C0 1F021188
	buffer_load_dwordx4 a[92:95], v52, s[24:27], 0 offen offset:1024// 000000009C5C: E05C1400 80865C34
	v_mfma_i32_16x16x32_i8 v[192:195], a[138:139], a[10:11], v[192:195]// 000000009C64: D3D700C0 1F02158A
	v_mfma_i32_16x16x32_i8 v[192:195], a[140:141], a[12:13], v[192:195]// 000000009C6C: D3D700C0 1F02198C
	v_mfma_i32_16x16x32_i8 v[192:195], a[142:143], a[14:15], v[192:195]// 000000009C74: D3D700C0 1F021D8E
	v_mfma_i32_16x16x32_i8 v[204:207], a[144:145], a[8:9], v[204:207]// 000000009C7C: D3D700CC 1F321190
	buffer_load_dwordx4 a[96:99], v53, s[24:27], 0 offen       // 000000009C84: E05C1000 80866035
	v_mfma_i32_16x16x32_i8 v[204:207], a[146:147], a[10:11], v[204:207]// 000000009C8C: D3D700CC 1F321592
	v_mfma_i32_16x16x32_i8 v[204:207], a[148:149], a[12:13], v[204:207]// 000000009C94: D3D700CC 1F321994
	v_mfma_i32_16x16x32_i8 v[204:207], a[150:151], a[14:15], v[204:207]// 000000009C9C: D3D700CC 1F321D96
	v_mfma_i32_16x16x32_i8 v[216:219], a[152:153], a[8:9], v[216:219]// 000000009CA4: D3D700D8 1F621198
	buffer_load_dwordx4 a[100:103], v53, s[24:27], 0 offen offset:1024// 000000009CAC: E05C1400 80866435
	v_mfma_i32_16x16x32_i8 v[216:219], a[154:155], a[10:11], v[216:219]// 000000009CB4: D3D700D8 1F62159A
	v_mfma_i32_16x16x32_i8 v[216:219], a[156:157], a[12:13], v[216:219]// 000000009CBC: D3D700D8 1F62199C
	v_mfma_i32_16x16x32_i8 v[216:219], a[158:159], a[14:15], v[216:219]// 000000009CC4: D3D700D8 1F621D9E
	v_mfma_i32_16x16x32_i8 v[228:231], a[160:161], a[8:9], v[228:231]// 000000009CCC: D3D700E4 1F9211A0
	buffer_load_dwordx4 a[104:107], v54, s[24:27], 0 offen     // 000000009CD4: E05C1000 80866836
	v_mfma_i32_16x16x32_i8 v[228:231], a[162:163], a[10:11], v[228:231]// 000000009CDC: D3D700E4 1F9215A2
	v_mfma_i32_16x16x32_i8 v[228:231], a[164:165], a[12:13], v[228:231]// 000000009CE4: D3D700E4 1F9219A4
	v_mfma_i32_16x16x32_i8 v[228:231], a[166:167], a[14:15], v[228:231]// 000000009CEC: D3D700E4 1F921DA6
	v_mfma_i32_16x16x32_i8 v[240:243], a[168:169], a[8:9], v[240:243]// 000000009CF4: D3D700F0 1FC211A8
	buffer_load_dwordx4 a[108:111], v54, s[24:27], 0 offen offset:1024// 000000009CFC: E05C1400 80866C36
	v_mfma_i32_16x16x32_i8 v[240:243], a[170:171], a[10:11], v[240:243]// 000000009D04: D3D700F0 1FC215AA
	v_mfma_i32_16x16x32_i8 v[240:243], a[172:173], a[12:13], v[240:243]// 000000009D0C: D3D700F0 1FC219AC
	v_mfma_i32_16x16x32_i8 v[240:243], a[174:175], a[14:15], v[240:243]// 000000009D14: D3D700F0 1FC21DAE
	v_mfma_i32_16x16x32_i8 v[160:163], a[112:113], a[16:17], v[160:163]// 000000009D1C: D3D700A0 1E822170
	v_mfma_i32_16x16x32_i8 v[160:163], a[114:115], a[18:19], v[160:163]// 000000009D24: D3D700A0 1E822572
	v_mfma_i32_16x16x32_i8 v[160:163], a[116:117], a[20:21], v[160:163]// 000000009D2C: D3D700A0 1E822974
	v_mfma_i32_16x16x32_i8 v[160:163], a[118:119], a[22:23], v[160:163]// 000000009D34: D3D700A0 1E822D76
	v_mfma_i32_16x16x32_i8 v[172:175], a[120:121], a[16:17], v[172:175]// 000000009D3C: D3D700AC 1EB22178
	v_mfma_i32_16x16x32_i8 v[172:175], a[122:123], a[18:19], v[172:175]// 000000009D44: D3D700AC 1EB2257A
	v_mfma_i32_16x16x32_i8 v[172:175], a[124:125], a[20:21], v[172:175]// 000000009D4C: D3D700AC 1EB2297C
	v_mfma_i32_16x16x32_i8 v[172:175], a[126:127], a[22:23], v[172:175]// 000000009D54: D3D700AC 1EB22D7E
	v_mfma_i32_16x16x32_i8 v[184:187], a[128:129], a[16:17], v[184:187]// 000000009D5C: D3D700B8 1EE22180
	v_mfma_i32_16x16x32_i8 v[184:187], a[130:131], a[18:19], v[184:187]// 000000009D64: D3D700B8 1EE22582
	v_mfma_i32_16x16x32_i8 v[184:187], a[132:133], a[20:21], v[184:187]// 000000009D6C: D3D700B8 1EE22984
	v_mfma_i32_16x16x32_i8 v[184:187], a[134:135], a[22:23], v[184:187]// 000000009D74: D3D700B8 1EE22D86
	v_mfma_i32_16x16x32_i8 v[196:199], a[136:137], a[16:17], v[196:199]// 000000009D7C: D3D700C4 1F122188
	v_mfma_i32_16x16x32_i8 v[196:199], a[138:139], a[18:19], v[196:199]// 000000009D84: D3D700C4 1F12258A
	v_mfma_i32_16x16x32_i8 v[196:199], a[140:141], a[20:21], v[196:199]// 000000009D8C: D3D700C4 1F12298C
	v_mfma_i32_16x16x32_i8 v[196:199], a[142:143], a[22:23], v[196:199]// 000000009D94: D3D700C4 1F122D8E
	v_mfma_i32_16x16x32_i8 v[208:211], a[144:145], a[16:17], v[208:211]// 000000009D9C: D3D700D0 1F422190
	v_mfma_i32_16x16x32_i8 v[208:211], a[146:147], a[18:19], v[208:211]// 000000009DA4: D3D700D0 1F422592
	v_mfma_i32_16x16x32_i8 v[208:211], a[148:149], a[20:21], v[208:211]// 000000009DAC: D3D700D0 1F422994
	v_mfma_i32_16x16x32_i8 v[208:211], a[150:151], a[22:23], v[208:211]// 000000009DB4: D3D700D0 1F422D96
	v_mfma_i32_16x16x32_i8 v[220:223], a[152:153], a[16:17], v[220:223]// 000000009DBC: D3D700DC 1F722198
	v_mfma_i32_16x16x32_i8 v[220:223], a[154:155], a[18:19], v[220:223]// 000000009DC4: D3D700DC 1F72259A
	v_mfma_i32_16x16x32_i8 v[220:223], a[156:157], a[20:21], v[220:223]// 000000009DCC: D3D700DC 1F72299C
	v_mfma_i32_16x16x32_i8 v[220:223], a[158:159], a[22:23], v[220:223]// 000000009DD4: D3D700DC 1F722D9E
	v_mfma_i32_16x16x32_i8 v[232:235], a[160:161], a[16:17], v[232:235]// 000000009DDC: D3D700E8 1FA221A0
	v_mfma_i32_16x16x32_i8 v[232:235], a[162:163], a[18:19], v[232:235]// 000000009DE4: D3D700E8 1FA225A2
	v_mfma_i32_16x16x32_i8 v[232:235], a[164:165], a[20:21], v[232:235]// 000000009DEC: D3D700E8 1FA229A4
	s_add_u32 s60, 0x180, s80                                  // 000000009DF4: 803C50FF 00000180
	s_cmp_lt_u32 s60, s81                                      // 000000009DFC: BF0A513C
	s_cselect_b32 s57, s57, 0                                  // 000000009E00: 85398039
	v_mfma_i32_16x16x32_i8 v[232:235], a[166:167], a[22:23], v[232:235]// 000000009E04: D3D700E8 1FA22DA6
	s_add_u32 s60, 0x100, s80                                  // 000000009E0C: 803C50FF 00000100
	s_cmp_lt_u32 s60, s81                                      // 000000009E14: BF0A513C
	s_cselect_b32 s58, s58, 0                                  // 000000009E18: 853A803A
	v_mfma_i32_16x16x32_i8 v[244:247], a[168:169], a[16:17], v[244:247]// 000000009E1C: D3D700F4 1FD221A8
	s_add_u32 s24, s58, s24                                    // 000000009E24: 8018183A
	s_addc_u32 s25, 0, s25                                     // 000000009E28: 82191980
	v_mfma_i32_16x16x32_i8 v[244:247], a[170:171], a[18:19], v[244:247]// 000000009E2C: D3D700F4 1FD225AA
	s_add_u32 s20, s57, s20                                    // 000000009E34: 80141439
	s_addc_u32 s21, 0, s21                                     // 000000009E38: 82151580
	v_mfma_i32_16x16x32_i8 v[244:247], a[172:173], a[20:21], v[244:247]// 000000009E3C: D3D700F4 1FD229AC
	s_add_u32 s84, s83, s84                                    // 000000009E44: 80545453
	s_addc_u32 s85, 0, s85                                     // 000000009E48: 82555580
	v_mfma_i32_16x16x32_i8 v[244:247], a[174:175], a[22:23], v[244:247]// 000000009E4C: D3D700F4 1FD22DAE
	s_addk_i32 s80, 0x80                                       // 000000009E54: B7500080
	s_cmp_lt_i32 s80, s81                                      // 000000009E58: BF045150
	s_cbranch_scc0 label_1F1E                                  // 000000009E5C: BF840203
	s_waitcnt vmcnt(14) lgkmcnt(0)                             // 000000009E60: BF8C007E
	s_barrier                                                  // 000000009E64: BF8A0000
	v_mfma_i32_16x16x32_i8 v[56:59], a[48:49], a[24:25], v[56:59]// 000000009E68: D3D70038 1CE23130
	buffer_load_dwordx4 a[112:115], v47, s[84:87], 0 offen     // 000000009E70: E05C1000 8095702F
	v_mfma_i32_16x16x32_i8 v[56:59], a[50:51], a[26:27], v[56:59]// 000000009E78: D3D70038 1CE23532
	v_mfma_i32_16x16x32_i8 v[56:59], a[52:53], a[28:29], v[56:59]// 000000009E80: D3D70038 1CE23934
	v_mfma_i32_16x16x32_i8 v[56:59], a[54:55], a[30:31], v[56:59]// 000000009E88: D3D70038 1CE23D36
	v_mfma_i32_16x16x32_i8 v[60:63], a[48:49], a[32:33], v[60:63]// 000000009E90: D3D7003C 1CF24130
	buffer_load_dwordx4 a[116:119], v47, s[84:87], 0 offen offset:1024// 000000009E98: E05C1400 8095742F
	v_mfma_i32_16x16x32_i8 v[60:63], a[50:51], a[34:35], v[60:63]// 000000009EA0: D3D7003C 1CF24532
	v_mfma_i32_16x16x32_i8 v[60:63], a[52:53], a[36:37], v[60:63]// 000000009EA8: D3D7003C 1CF24934
	v_mfma_i32_16x16x32_i8 v[60:63], a[54:55], a[38:39], v[60:63]// 000000009EB0: D3D7003C 1CF24D36
	v_mfma_i32_16x16x32_i8 v[64:67], a[48:49], a[40:41], v[64:67]// 000000009EB8: D3D70040 1D025130
	buffer_load_dwordx4 a[120:123], v48, s[84:87], 0 offen     // 000000009EC0: E05C1000 80957830
	v_mfma_i32_16x16x32_i8 v[64:67], a[50:51], a[42:43], v[64:67]// 000000009EC8: D3D70040 1D025532
	v_mfma_i32_16x16x32_i8 v[64:67], a[52:53], a[44:45], v[64:67]// 000000009ED0: D3D70040 1D025934
	v_mfma_i32_16x16x32_i8 v[64:67], a[54:55], a[46:47], v[64:67]// 000000009ED8: D3D70040 1D025D36
	s_waitcnt vmcnt(15)                                        // 000000009EE0: BF8C0F7F
	v_mfma_i32_16x16x32_i8 v[68:71], a[56:57], a[24:25], v[68:71]// 000000009EE4: D3D70044 1D123138
	buffer_load_dwordx4 a[124:127], v48, s[84:87], 0 offen offset:1024// 000000009EEC: E05C1400 80957C30
	v_mfma_i32_16x16x32_i8 v[68:71], a[58:59], a[26:27], v[68:71]// 000000009EF4: D3D70044 1D12353A
	v_mfma_i32_16x16x32_i8 v[68:71], a[60:61], a[28:29], v[68:71]// 000000009EFC: D3D70044 1D12393C
	v_mfma_i32_16x16x32_i8 v[68:71], a[62:63], a[30:31], v[68:71]// 000000009F04: D3D70044 1D123D3E
	v_mfma_i32_16x16x32_i8 v[72:75], a[56:57], a[32:33], v[72:75]// 000000009F0C: D3D70048 1D224138
	buffer_load_dwordx4 a[128:131], v49, s[84:87], 0 offen     // 000000009F14: E05C1000 80958031
	v_mfma_i32_16x16x32_i8 v[72:75], a[58:59], a[34:35], v[72:75]// 000000009F1C: D3D70048 1D22453A
	v_mfma_i32_16x16x32_i8 v[72:75], a[60:61], a[36:37], v[72:75]// 000000009F24: D3D70048 1D22493C
	v_mfma_i32_16x16x32_i8 v[72:75], a[62:63], a[38:39], v[72:75]// 000000009F2C: D3D70048 1D224D3E
	v_mfma_i32_16x16x32_i8 v[76:79], a[56:57], a[40:41], v[76:79]// 000000009F34: D3D7004C 1D325138
	buffer_load_dwordx4 a[132:135], v49, s[84:87], 0 offen offset:1024// 000000009F3C: E05C1400 80958431
	v_mfma_i32_16x16x32_i8 v[76:79], a[58:59], a[42:43], v[76:79]// 000000009F44: D3D7004C 1D32553A
	v_mfma_i32_16x16x32_i8 v[76:79], a[60:61], a[44:45], v[76:79]// 000000009F4C: D3D7004C 1D32593C
	v_mfma_i32_16x16x32_i8 v[76:79], a[62:63], a[46:47], v[76:79]// 000000009F54: D3D7004C 1D325D3E
	s_waitcnt vmcnt(16)                                        // 000000009F5C: BF8C4F70
	v_mfma_i32_16x16x32_i8 v[80:83], a[64:65], a[24:25], v[80:83]// 000000009F60: D3D70050 1D423140
	buffer_load_dwordx4 a[136:139], v50, s[84:87], 0 offen     // 000000009F68: E05C1000 80958832
	v_mfma_i32_16x16x32_i8 v[80:83], a[66:67], a[26:27], v[80:83]// 000000009F70: D3D70050 1D423542
	v_mfma_i32_16x16x32_i8 v[80:83], a[68:69], a[28:29], v[80:83]// 000000009F78: D3D70050 1D423944
	v_mfma_i32_16x16x32_i8 v[80:83], a[70:71], a[30:31], v[80:83]// 000000009F80: D3D70050 1D423D46
	v_mfma_i32_16x16x32_i8 v[84:87], a[64:65], a[32:33], v[84:87]// 000000009F88: D3D70054 1D524140
	buffer_load_dwordx4 a[140:143], v50, s[84:87], 0 offen offset:1024// 000000009F90: E05C1400 80958C32
	v_mfma_i32_16x16x32_i8 v[84:87], a[66:67], a[34:35], v[84:87]// 000000009F98: D3D70054 1D524542
	v_mfma_i32_16x16x32_i8 v[84:87], a[68:69], a[36:37], v[84:87]// 000000009FA0: D3D70054 1D524944
	v_mfma_i32_16x16x32_i8 v[84:87], a[70:71], a[38:39], v[84:87]// 000000009FA8: D3D70054 1D524D46
	v_mfma_i32_16x16x32_i8 v[88:91], a[64:65], a[40:41], v[88:91]// 000000009FB0: D3D70058 1D625140
	buffer_load_dwordx4 a[144:147], v51, s[84:87], 0 offen     // 000000009FB8: E05C1000 80959033
	v_mfma_i32_16x16x32_i8 v[88:91], a[66:67], a[42:43], v[88:91]// 000000009FC0: D3D70058 1D625542
	v_mfma_i32_16x16x32_i8 v[88:91], a[68:69], a[44:45], v[88:91]// 000000009FC8: D3D70058 1D625944
	v_mfma_i32_16x16x32_i8 v[88:91], a[70:71], a[46:47], v[88:91]// 000000009FD0: D3D70058 1D625D46
	s_waitcnt vmcnt(17)                                        // 000000009FD8: BF8C4F71
	v_mfma_i32_16x16x32_i8 v[92:95], a[72:73], a[24:25], v[92:95]// 000000009FDC: D3D7005C 1D723148
	buffer_load_dwordx4 a[148:151], v51, s[84:87], 0 offen offset:1024// 000000009FE4: E05C1400 80959433
	v_mfma_i32_16x16x32_i8 v[92:95], a[74:75], a[26:27], v[92:95]// 000000009FEC: D3D7005C 1D72354A
	v_mfma_i32_16x16x32_i8 v[92:95], a[76:77], a[28:29], v[92:95]// 000000009FF4: D3D7005C 1D72394C
	v_mfma_i32_16x16x32_i8 v[92:95], a[78:79], a[30:31], v[92:95]// 000000009FFC: D3D7005C 1D723D4E
	v_mfma_i32_16x16x32_i8 v[96:99], a[72:73], a[32:33], v[96:99]// 00000000A004: D3D70060 1D824148
	buffer_load_dwordx4 a[152:155], v52, s[84:87], 0 offen     // 00000000A00C: E05C1000 80959834
	v_mfma_i32_16x16x32_i8 v[96:99], a[74:75], a[34:35], v[96:99]// 00000000A014: D3D70060 1D82454A
	v_mfma_i32_16x16x32_i8 v[96:99], a[76:77], a[36:37], v[96:99]// 00000000A01C: D3D70060 1D82494C
	v_mfma_i32_16x16x32_i8 v[96:99], a[78:79], a[38:39], v[96:99]// 00000000A024: D3D70060 1D824D4E
	v_mfma_i32_16x16x32_i8 v[100:103], a[72:73], a[40:41], v[100:103]// 00000000A02C: D3D70064 1D925148
	buffer_load_dwordx4 a[156:159], v52, s[84:87], 0 offen offset:1024// 00000000A034: E05C1400 80959C34
	v_mfma_i32_16x16x32_i8 v[100:103], a[74:75], a[42:43], v[100:103]// 00000000A03C: D3D70064 1D92554A
	v_mfma_i32_16x16x32_i8 v[100:103], a[76:77], a[44:45], v[100:103]// 00000000A044: D3D70064 1D92594C
	v_mfma_i32_16x16x32_i8 v[100:103], a[78:79], a[46:47], v[100:103]// 00000000A04C: D3D70064 1D925D4E
	s_waitcnt vmcnt(18)                                        // 00000000A054: BF8C4F72
	v_mfma_i32_16x16x32_i8 v[104:107], a[80:81], a[24:25], v[104:107]// 00000000A058: D3D70068 1DA23150
	buffer_load_dwordx4 a[160:163], v53, s[84:87], 0 offen     // 00000000A060: E05C1000 8095A035
	v_mfma_i32_16x16x32_i8 v[104:107], a[82:83], a[26:27], v[104:107]// 00000000A068: D3D70068 1DA23552
	v_mfma_i32_16x16x32_i8 v[104:107], a[84:85], a[28:29], v[104:107]// 00000000A070: D3D70068 1DA23954
	v_mfma_i32_16x16x32_i8 v[104:107], a[86:87], a[30:31], v[104:107]// 00000000A078: D3D70068 1DA23D56
	v_mfma_i32_16x16x32_i8 v[108:111], a[80:81], a[32:33], v[108:111]// 00000000A080: D3D7006C 1DB24150
	buffer_load_dwordx4 a[164:167], v53, s[84:87], 0 offen offset:1024// 00000000A088: E05C1400 8095A435
	v_mfma_i32_16x16x32_i8 v[108:111], a[82:83], a[34:35], v[108:111]// 00000000A090: D3D7006C 1DB24552
	v_mfma_i32_16x16x32_i8 v[108:111], a[84:85], a[36:37], v[108:111]// 00000000A098: D3D7006C 1DB24954
	v_mfma_i32_16x16x32_i8 v[108:111], a[86:87], a[38:39], v[108:111]// 00000000A0A0: D3D7006C 1DB24D56
	v_mfma_i32_16x16x32_i8 v[112:115], a[80:81], a[40:41], v[112:115]// 00000000A0A8: D3D70070 1DC25150
	buffer_load_dwordx4 a[168:171], v54, s[84:87], 0 offen     // 00000000A0B0: E05C1000 8095A836
	v_mfma_i32_16x16x32_i8 v[112:115], a[82:83], a[42:43], v[112:115]// 00000000A0B8: D3D70070 1DC25552
	v_mfma_i32_16x16x32_i8 v[112:115], a[84:85], a[44:45], v[112:115]// 00000000A0C0: D3D70070 1DC25954
	v_mfma_i32_16x16x32_i8 v[112:115], a[86:87], a[46:47], v[112:115]// 00000000A0C8: D3D70070 1DC25D56
	s_waitcnt vmcnt(19)                                        // 00000000A0D0: BF8C4F73
	v_mfma_i32_16x16x32_i8 v[116:119], a[88:89], a[24:25], v[116:119]// 00000000A0D4: D3D70074 1DD23158
	buffer_load_dwordx4 a[172:175], v54, s[84:87], 0 offen offset:1024// 00000000A0DC: E05C1400 8095AC36
	buffer_load_dword v41, s[20:23], 0 offen lds               // 00000000A0E4: E0511000 80050029
	s_add_u32 m0, 0x100, s49                                   // 00000000A0EC: 807C31FF 00000100
	v_mfma_i32_16x16x32_i8 v[116:119], a[90:91], a[26:27], v[116:119]// 00000000A0F4: D3D70074 1DD2355A
	v_mfma_i32_16x16x32_i8 v[116:119], a[92:93], a[28:29], v[116:119]// 00000000A0FC: D3D70074 1DD2395C
	buffer_load_dword v42, s[20:23], 0 offen lds               // 00000000A104: E0511000 8005002A
	s_add_u32 m0, 0x200, s49                                   // 00000000A10C: 807C31FF 00000200
	v_mfma_i32_16x16x32_i8 v[116:119], a[94:95], a[30:31], v[116:119]// 00000000A114: D3D70074 1DD23D5E
	v_mfma_i32_16x16x32_i8 v[120:123], a[88:89], a[32:33], v[120:123]// 00000000A11C: D3D70078 1DE24158
	buffer_load_dword v43, s[20:23], 0 offen lds               // 00000000A124: E0511000 8005002B
	s_add_u32 m0, 0x300, s49                                   // 00000000A12C: 807C31FF 00000300
	v_mfma_i32_16x16x32_i8 v[120:123], a[90:91], a[34:35], v[120:123]// 00000000A134: D3D70078 1DE2455A
	v_mfma_i32_16x16x32_i8 v[120:123], a[92:93], a[36:37], v[120:123]// 00000000A13C: D3D70078 1DE2495C
	buffer_load_dword v44, s[20:23], 0 offen lds               // 00000000A144: E0511000 8005002C
	s_add_u32 m0, 0x400, s49                                   // 00000000A14C: 807C31FF 00000400
	v_mfma_i32_16x16x32_i8 v[120:123], a[94:95], a[38:39], v[120:123]// 00000000A154: D3D70078 1DE24D5E
	v_mfma_i32_16x16x32_i8 v[124:127], a[88:89], a[40:41], v[124:127]// 00000000A15C: D3D7007C 1DF25158
	buffer_load_dword v45, s[20:23], 0 offen lds               // 00000000A164: E0511000 8005002D
	s_add_u32 m0, 0x500, s49                                   // 00000000A16C: 807C31FF 00000500
	v_mfma_i32_16x16x32_i8 v[124:127], a[90:91], a[42:43], v[124:127]// 00000000A174: D3D7007C 1DF2555A
	v_mfma_i32_16x16x32_i8 v[124:127], a[92:93], a[44:45], v[124:127]// 00000000A17C: D3D7007C 1DF2595C
	buffer_load_dword v46, s[20:23], 0 offen lds               // 00000000A184: E0511000 8005002E
	s_add_u32 m0, 0, s48                                       // 00000000A18C: 807C3080
	v_mfma_i32_16x16x32_i8 v[124:127], a[94:95], a[46:47], v[124:127]// 00000000A190: D3D7007C 1DF25D5E
	s_waitcnt vmcnt(24)                                        // 00000000A198: BF8C4F78
	v_mfma_i32_16x16x32_i8 v[128:131], a[96:97], a[24:25], v[128:131]// 00000000A19C: D3D70080 1E023160
	v_mfma_i32_16x16x32_i8 v[128:131], a[98:99], a[26:27], v[128:131]// 00000000A1A4: D3D70080 1E023562
	v_mfma_i32_16x16x32_i8 v[128:131], a[100:101], a[28:29], v[128:131]// 00000000A1AC: D3D70080 1E023964
	v_mfma_i32_16x16x32_i8 v[128:131], a[102:103], a[30:31], v[128:131]// 00000000A1B4: D3D70080 1E023D66
	v_mfma_i32_16x16x32_i8 v[132:135], a[96:97], a[32:33], v[132:135]// 00000000A1BC: D3D70084 1E124160
	v_mfma_i32_16x16x32_i8 v[132:135], a[98:99], a[34:35], v[132:135]// 00000000A1C4: D3D70084 1E124562
	v_mfma_i32_16x16x32_i8 v[132:135], a[100:101], a[36:37], v[132:135]// 00000000A1CC: D3D70084 1E124964
	v_mfma_i32_16x16x32_i8 v[132:135], a[102:103], a[38:39], v[132:135]// 00000000A1D4: D3D70084 1E124D66
	v_mfma_i32_16x16x32_i8 v[136:139], a[96:97], a[40:41], v[136:139]// 00000000A1DC: D3D70088 1E225160
	v_mfma_i32_16x16x32_i8 v[136:139], a[98:99], a[42:43], v[136:139]// 00000000A1E4: D3D70088 1E225562
	v_mfma_i32_16x16x32_i8 v[136:139], a[100:101], a[44:45], v[136:139]// 00000000A1EC: D3D70088 1E225964
	v_mfma_i32_16x16x32_i8 v[136:139], a[102:103], a[46:47], v[136:139]// 00000000A1F4: D3D70088 1E225D66
	s_waitcnt vmcnt(22)                                        // 00000000A1FC: BF8C4F76
	v_mfma_i32_16x16x32_i8 v[140:143], a[104:105], a[24:25], v[140:143]// 00000000A200: D3D7008C 1E323168
	v_mfma_i32_16x16x32_i8 v[140:143], a[106:107], a[26:27], v[140:143]// 00000000A208: D3D7008C 1E32356A
	v_mfma_i32_16x16x32_i8 v[140:143], a[108:109], a[28:29], v[140:143]// 00000000A210: D3D7008C 1E32396C
	v_mfma_i32_16x16x32_i8 v[140:143], a[110:111], a[30:31], v[140:143]// 00000000A218: D3D7008C 1E323D6E
	v_mfma_i32_16x16x32_i8 v[144:147], a[104:105], a[32:33], v[144:147]// 00000000A220: D3D70090 1E424168
	v_mfma_i32_16x16x32_i8 v[144:147], a[106:107], a[34:35], v[144:147]// 00000000A228: D3D70090 1E42456A
	v_mfma_i32_16x16x32_i8 v[144:147], a[108:109], a[36:37], v[144:147]// 00000000A230: D3D70090 1E42496C
	v_mfma_i32_16x16x32_i8 v[144:147], a[110:111], a[38:39], v[144:147]// 00000000A238: D3D70090 1E424D6E
	v_mfma_i32_16x16x32_i8 v[148:151], a[104:105], a[40:41], v[148:151]// 00000000A240: D3D70094 1E525168
	v_mfma_i32_16x16x32_i8 v[148:151], a[106:107], a[42:43], v[148:151]// 00000000A248: D3D70094 1E52556A
	s_add_u32 s60, 0x80, s80                                   // 00000000A250: 803C50FF 00000080
	s_cmp_lt_u32 s60, s81                                      // 00000000A258: BF0A513C
	s_cselect_b32 s83, s83, 0                                  // 00000000A25C: 85538053
	v_mfma_i32_16x16x32_i8 v[148:151], a[108:109], a[44:45], v[148:151]// 00000000A260: D3D70094 1E52596C
	v_mfma_i32_16x16x32_i8 v[148:151], a[110:111], a[46:47], v[148:151]// 00000000A268: D3D70094 1E525D6E
	s_waitcnt vmcnt(6)                                         // 00000000A270: BF8C0F76
	v_mfma_i32_16x16x32_i8 v[152:155], a[112:113], a[24:25], v[152:155]// 00000000A274: D3D70098 1E623170
	buffer_load_dwordx4 a[48:51], v47, s[24:27], 0 offen       // 00000000A27C: E05C1000 8086302F
	v_mfma_i32_16x16x32_i8 v[152:155], a[114:115], a[26:27], v[152:155]// 00000000A284: D3D70098 1E623572
	v_mfma_i32_16x16x32_i8 v[152:155], a[116:117], a[28:29], v[152:155]// 00000000A28C: D3D70098 1E623974
	ds_read_b128 a[0:3], v2                                    // 00000000A294: DBFE0000 00000002
	ds_read_b128 a[4:7], v2 offset:64                          // 00000000A29C: DBFE0040 04000002
	v_mfma_i32_16x16x32_i8 v[152:155], a[118:119], a[30:31], v[152:155]// 00000000A2A4: D3D70098 1E623D76
	v_mfma_i32_16x16x32_i8 v[164:167], a[120:121], a[24:25], v[164:167]// 00000000A2AC: D3D700A4 1E923178
	buffer_load_dwordx4 a[52:55], v47, s[24:27], 0 offen offset:1024// 00000000A2B4: E05C1400 8086342F
	v_mfma_i32_16x16x32_i8 v[164:167], a[122:123], a[26:27], v[164:167]// 00000000A2BC: D3D700A4 1E92357A
	v_mfma_i32_16x16x32_i8 v[164:167], a[124:125], a[28:29], v[164:167]// 00000000A2C4: D3D700A4 1E92397C
	ds_read_b128 a[8:11], v2 offset:512                        // 00000000A2CC: DBFE0200 08000002
	ds_read_b128 a[12:15], v2 offset:576                       // 00000000A2D4: DBFE0240 0C000002
	v_mfma_i32_16x16x32_i8 v[164:167], a[126:127], a[30:31], v[164:167]// 00000000A2DC: D3D700A4 1E923D7E
	v_mfma_i32_16x16x32_i8 v[176:179], a[128:129], a[24:25], v[176:179]// 00000000A2E4: D3D700B0 1EC23180
	buffer_load_dwordx4 a[56:59], v48, s[24:27], 0 offen       // 00000000A2EC: E05C1000 80863830
	v_mfma_i32_16x16x32_i8 v[176:179], a[130:131], a[26:27], v[176:179]// 00000000A2F4: D3D700B0 1EC23582
	v_mfma_i32_16x16x32_i8 v[176:179], a[132:133], a[28:29], v[176:179]// 00000000A2FC: D3D700B0 1EC23984
	ds_read_b128 a[16:19], v2 offset:1024                      // 00000000A304: DBFE0400 10000002
	ds_read_b128 a[20:23], v2 offset:1088                      // 00000000A30C: DBFE0440 14000002
	v_mfma_i32_16x16x32_i8 v[176:179], a[134:135], a[30:31], v[176:179]// 00000000A314: D3D700B0 1EC23D86
	v_mfma_i32_16x16x32_i8 v[188:191], a[136:137], a[24:25], v[188:191]// 00000000A31C: D3D700BC 1EF23188
	buffer_load_dwordx4 a[60:63], v48, s[24:27], 0 offen offset:1024// 00000000A324: E05C1400 80863C30
	v_mfma_i32_16x16x32_i8 v[188:191], a[138:139], a[26:27], v[188:191]// 00000000A32C: D3D700BC 1EF2358A
	v_mfma_i32_16x16x32_i8 v[188:191], a[140:141], a[28:29], v[188:191]// 00000000A334: D3D700BC 1EF2398C
	v_mfma_i32_16x16x32_i8 v[188:191], a[142:143], a[30:31], v[188:191]// 00000000A33C: D3D700BC 1EF23D8E
	v_mfma_i32_16x16x32_i8 v[200:203], a[144:145], a[24:25], v[200:203]// 00000000A344: D3D700C8 1F223190
	buffer_load_dwordx4 a[64:67], v49, s[24:27], 0 offen       // 00000000A34C: E05C1000 80864031
	v_mfma_i32_16x16x32_i8 v[200:203], a[146:147], a[26:27], v[200:203]// 00000000A354: D3D700C8 1F223592
	v_mfma_i32_16x16x32_i8 v[200:203], a[148:149], a[28:29], v[200:203]// 00000000A35C: D3D700C8 1F223994
	v_mfma_i32_16x16x32_i8 v[200:203], a[150:151], a[30:31], v[200:203]// 00000000A364: D3D700C8 1F223D96
	v_mfma_i32_16x16x32_i8 v[212:215], a[152:153], a[24:25], v[212:215]// 00000000A36C: D3D700D4 1F523198
	buffer_load_dwordx4 a[68:71], v49, s[24:27], 0 offen offset:1024// 00000000A374: E05C1400 80864431
	v_mfma_i32_16x16x32_i8 v[212:215], a[154:155], a[26:27], v[212:215]// 00000000A37C: D3D700D4 1F52359A
	v_mfma_i32_16x16x32_i8 v[212:215], a[156:157], a[28:29], v[212:215]// 00000000A384: D3D700D4 1F52399C
	v_mfma_i32_16x16x32_i8 v[212:215], a[158:159], a[30:31], v[212:215]// 00000000A38C: D3D700D4 1F523D9E
	v_mfma_i32_16x16x32_i8 v[224:227], a[160:161], a[24:25], v[224:227]// 00000000A394: D3D700E0 1F8231A0
	buffer_load_dwordx4 a[72:75], v50, s[24:27], 0 offen       // 00000000A39C: E05C1000 80864832
	v_mfma_i32_16x16x32_i8 v[224:227], a[162:163], a[26:27], v[224:227]// 00000000A3A4: D3D700E0 1F8235A2
	v_mfma_i32_16x16x32_i8 v[224:227], a[164:165], a[28:29], v[224:227]// 00000000A3AC: D3D700E0 1F8239A4
	v_mfma_i32_16x16x32_i8 v[224:227], a[166:167], a[30:31], v[224:227]// 00000000A3B4: D3D700E0 1F823DA6
	v_mfma_i32_16x16x32_i8 v[236:239], a[168:169], a[24:25], v[236:239]// 00000000A3BC: D3D700EC 1FB231A8
	buffer_load_dwordx4 a[76:79], v50, s[24:27], 0 offen offset:1024// 00000000A3C4: E05C1400 80864C32
	v_mfma_i32_16x16x32_i8 v[236:239], a[170:171], a[26:27], v[236:239]// 00000000A3CC: D3D700EC 1FB235AA
	v_mfma_i32_16x16x32_i8 v[236:239], a[172:173], a[28:29], v[236:239]// 00000000A3D4: D3D700EC 1FB239AC
	v_mfma_i32_16x16x32_i8 v[236:239], a[174:175], a[30:31], v[236:239]// 00000000A3DC: D3D700EC 1FB23DAE
	v_mfma_i32_16x16x32_i8 v[156:159], a[112:113], a[32:33], v[156:159]// 00000000A3E4: D3D7009C 1E724170
	buffer_load_dwordx4 a[80:83], v51, s[24:27], 0 offen       // 00000000A3EC: E05C1000 80865033
	v_mfma_i32_16x16x32_i8 v[156:159], a[114:115], a[34:35], v[156:159]// 00000000A3F4: D3D7009C 1E724572
	v_mfma_i32_16x16x32_i8 v[156:159], a[116:117], a[36:37], v[156:159]// 00000000A3FC: D3D7009C 1E724974
	v_mfma_i32_16x16x32_i8 v[156:159], a[118:119], a[38:39], v[156:159]// 00000000A404: D3D7009C 1E724D76
	v_mfma_i32_16x16x32_i8 v[168:171], a[120:121], a[32:33], v[168:171]// 00000000A40C: D3D700A8 1EA24178
	buffer_load_dwordx4 a[84:87], v51, s[24:27], 0 offen offset:1024// 00000000A414: E05C1400 80865433
	v_mfma_i32_16x16x32_i8 v[168:171], a[122:123], a[34:35], v[168:171]// 00000000A41C: D3D700A8 1EA2457A
	v_mfma_i32_16x16x32_i8 v[168:171], a[124:125], a[36:37], v[168:171]// 00000000A424: D3D700A8 1EA2497C
	v_mfma_i32_16x16x32_i8 v[168:171], a[126:127], a[38:39], v[168:171]// 00000000A42C: D3D700A8 1EA24D7E
	v_mfma_i32_16x16x32_i8 v[180:183], a[128:129], a[32:33], v[180:183]// 00000000A434: D3D700B4 1ED24180
	buffer_load_dwordx4 a[88:91], v52, s[24:27], 0 offen       // 00000000A43C: E05C1000 80865834
	v_mfma_i32_16x16x32_i8 v[180:183], a[130:131], a[34:35], v[180:183]// 00000000A444: D3D700B4 1ED24582
	v_mfma_i32_16x16x32_i8 v[180:183], a[132:133], a[36:37], v[180:183]// 00000000A44C: D3D700B4 1ED24984
	v_mfma_i32_16x16x32_i8 v[180:183], a[134:135], a[38:39], v[180:183]// 00000000A454: D3D700B4 1ED24D86
	v_mfma_i32_16x16x32_i8 v[192:195], a[136:137], a[32:33], v[192:195]// 00000000A45C: D3D700C0 1F024188
	buffer_load_dwordx4 a[92:95], v52, s[24:27], 0 offen offset:1024// 00000000A464: E05C1400 80865C34
	v_mfma_i32_16x16x32_i8 v[192:195], a[138:139], a[34:35], v[192:195]// 00000000A46C: D3D700C0 1F02458A
	v_mfma_i32_16x16x32_i8 v[192:195], a[140:141], a[36:37], v[192:195]// 00000000A474: D3D700C0 1F02498C
	v_mfma_i32_16x16x32_i8 v[192:195], a[142:143], a[38:39], v[192:195]// 00000000A47C: D3D700C0 1F024D8E
	v_mfma_i32_16x16x32_i8 v[204:207], a[144:145], a[32:33], v[204:207]// 00000000A484: D3D700CC 1F324190
	buffer_load_dwordx4 a[96:99], v53, s[24:27], 0 offen       // 00000000A48C: E05C1000 80866035
	v_mfma_i32_16x16x32_i8 v[204:207], a[146:147], a[34:35], v[204:207]// 00000000A494: D3D700CC 1F324592
	v_mfma_i32_16x16x32_i8 v[204:207], a[148:149], a[36:37], v[204:207]// 00000000A49C: D3D700CC 1F324994
	v_mfma_i32_16x16x32_i8 v[204:207], a[150:151], a[38:39], v[204:207]// 00000000A4A4: D3D700CC 1F324D96
	v_mfma_i32_16x16x32_i8 v[216:219], a[152:153], a[32:33], v[216:219]// 00000000A4AC: D3D700D8 1F624198
	buffer_load_dwordx4 a[100:103], v53, s[24:27], 0 offen offset:1024// 00000000A4B4: E05C1400 80866435
	v_mfma_i32_16x16x32_i8 v[216:219], a[154:155], a[34:35], v[216:219]// 00000000A4BC: D3D700D8 1F62459A
	v_mfma_i32_16x16x32_i8 v[216:219], a[156:157], a[36:37], v[216:219]// 00000000A4C4: D3D700D8 1F62499C
	v_mfma_i32_16x16x32_i8 v[216:219], a[158:159], a[38:39], v[216:219]// 00000000A4CC: D3D700D8 1F624D9E
	v_mfma_i32_16x16x32_i8 v[228:231], a[160:161], a[32:33], v[228:231]// 00000000A4D4: D3D700E4 1F9241A0
	buffer_load_dwordx4 a[104:107], v54, s[24:27], 0 offen     // 00000000A4DC: E05C1000 80866836
	v_mfma_i32_16x16x32_i8 v[228:231], a[162:163], a[34:35], v[228:231]// 00000000A4E4: D3D700E4 1F9245A2
	v_mfma_i32_16x16x32_i8 v[228:231], a[164:165], a[36:37], v[228:231]// 00000000A4EC: D3D700E4 1F9249A4
	v_mfma_i32_16x16x32_i8 v[228:231], a[166:167], a[38:39], v[228:231]// 00000000A4F4: D3D700E4 1F924DA6
	v_mfma_i32_16x16x32_i8 v[240:243], a[168:169], a[32:33], v[240:243]// 00000000A4FC: D3D700F0 1FC241A8
	buffer_load_dwordx4 a[108:111], v54, s[24:27], 0 offen offset:1024// 00000000A504: E05C1400 80866C36
	v_mfma_i32_16x16x32_i8 v[240:243], a[170:171], a[34:35], v[240:243]// 00000000A50C: D3D700F0 1FC245AA
	v_mfma_i32_16x16x32_i8 v[240:243], a[172:173], a[36:37], v[240:243]// 00000000A514: D3D700F0 1FC249AC
	v_mfma_i32_16x16x32_i8 v[240:243], a[174:175], a[38:39], v[240:243]// 00000000A51C: D3D700F0 1FC24DAE
	v_mfma_i32_16x16x32_i8 v[160:163], a[112:113], a[40:41], v[160:163]// 00000000A524: D3D700A0 1E825170
	v_mfma_i32_16x16x32_i8 v[160:163], a[114:115], a[42:43], v[160:163]// 00000000A52C: D3D700A0 1E825572
	v_mfma_i32_16x16x32_i8 v[160:163], a[116:117], a[44:45], v[160:163]// 00000000A534: D3D700A0 1E825974
	v_mfma_i32_16x16x32_i8 v[160:163], a[118:119], a[46:47], v[160:163]// 00000000A53C: D3D700A0 1E825D76
	v_mfma_i32_16x16x32_i8 v[172:175], a[120:121], a[40:41], v[172:175]// 00000000A544: D3D700AC 1EB25178
	v_mfma_i32_16x16x32_i8 v[172:175], a[122:123], a[42:43], v[172:175]// 00000000A54C: D3D700AC 1EB2557A
	v_mfma_i32_16x16x32_i8 v[172:175], a[124:125], a[44:45], v[172:175]// 00000000A554: D3D700AC 1EB2597C
	v_mfma_i32_16x16x32_i8 v[172:175], a[126:127], a[46:47], v[172:175]// 00000000A55C: D3D700AC 1EB25D7E
	v_mfma_i32_16x16x32_i8 v[184:187], a[128:129], a[40:41], v[184:187]// 00000000A564: D3D700B8 1EE25180
	v_mfma_i32_16x16x32_i8 v[184:187], a[130:131], a[42:43], v[184:187]// 00000000A56C: D3D700B8 1EE25582
	v_mfma_i32_16x16x32_i8 v[184:187], a[132:133], a[44:45], v[184:187]// 00000000A574: D3D700B8 1EE25984
	v_mfma_i32_16x16x32_i8 v[184:187], a[134:135], a[46:47], v[184:187]// 00000000A57C: D3D700B8 1EE25D86
	v_mfma_i32_16x16x32_i8 v[196:199], a[136:137], a[40:41], v[196:199]// 00000000A584: D3D700C4 1F125188
	v_mfma_i32_16x16x32_i8 v[196:199], a[138:139], a[42:43], v[196:199]// 00000000A58C: D3D700C4 1F12558A
	v_mfma_i32_16x16x32_i8 v[196:199], a[140:141], a[44:45], v[196:199]// 00000000A594: D3D700C4 1F12598C
	v_mfma_i32_16x16x32_i8 v[196:199], a[142:143], a[46:47], v[196:199]// 00000000A59C: D3D700C4 1F125D8E
	v_mfma_i32_16x16x32_i8 v[208:211], a[144:145], a[40:41], v[208:211]// 00000000A5A4: D3D700D0 1F425190
	v_mfma_i32_16x16x32_i8 v[208:211], a[146:147], a[42:43], v[208:211]// 00000000A5AC: D3D700D0 1F425592
	v_mfma_i32_16x16x32_i8 v[208:211], a[148:149], a[44:45], v[208:211]// 00000000A5B4: D3D700D0 1F425994
	v_mfma_i32_16x16x32_i8 v[208:211], a[150:151], a[46:47], v[208:211]// 00000000A5BC: D3D700D0 1F425D96
	v_mfma_i32_16x16x32_i8 v[220:223], a[152:153], a[40:41], v[220:223]// 00000000A5C4: D3D700DC 1F725198
	v_mfma_i32_16x16x32_i8 v[220:223], a[154:155], a[42:43], v[220:223]// 00000000A5CC: D3D700DC 1F72559A
	v_mfma_i32_16x16x32_i8 v[220:223], a[156:157], a[44:45], v[220:223]// 00000000A5D4: D3D700DC 1F72599C
	v_mfma_i32_16x16x32_i8 v[220:223], a[158:159], a[46:47], v[220:223]// 00000000A5DC: D3D700DC 1F725D9E
	v_mfma_i32_16x16x32_i8 v[232:235], a[160:161], a[40:41], v[232:235]// 00000000A5E4: D3D700E8 1FA251A0
	v_mfma_i32_16x16x32_i8 v[232:235], a[162:163], a[42:43], v[232:235]// 00000000A5EC: D3D700E8 1FA255A2
	v_mfma_i32_16x16x32_i8 v[232:235], a[164:165], a[44:45], v[232:235]// 00000000A5F4: D3D700E8 1FA259A4
	s_add_u32 s60, 0x180, s80                                  // 00000000A5FC: 803C50FF 00000180
	s_cmp_lt_u32 s60, s81                                      // 00000000A604: BF0A513C
	s_cselect_b32 s57, s57, 0                                  // 00000000A608: 85398039
	v_mfma_i32_16x16x32_i8 v[232:235], a[166:167], a[46:47], v[232:235]// 00000000A60C: D3D700E8 1FA25DA6
	s_add_u32 s60, 0x100, s80                                  // 00000000A614: 803C50FF 00000100
	s_cmp_lt_u32 s60, s81                                      // 00000000A61C: BF0A513C
	s_cselect_b32 s58, s58, 0                                  // 00000000A620: 853A803A
	v_mfma_i32_16x16x32_i8 v[244:247], a[168:169], a[40:41], v[244:247]// 00000000A624: D3D700F4 1FD251A8
	s_add_u32 s24, s58, s24                                    // 00000000A62C: 8018183A
	s_addc_u32 s25, 0, s25                                     // 00000000A630: 82191980
	v_mfma_i32_16x16x32_i8 v[244:247], a[170:171], a[42:43], v[244:247]// 00000000A634: D3D700F4 1FD255AA
	s_add_u32 s20, s57, s20                                    // 00000000A63C: 80141439
	s_addc_u32 s21, 0, s21                                     // 00000000A640: 82151580
	v_mfma_i32_16x16x32_i8 v[244:247], a[172:173], a[44:45], v[244:247]// 00000000A644: D3D700F4 1FD259AC
	s_add_u32 s84, s83, s84                                    // 00000000A64C: 80545453
	s_addc_u32 s85, 0, s85                                     // 00000000A650: 82555580
	v_mfma_i32_16x16x32_i8 v[244:247], a[174:175], a[46:47], v[244:247]// 00000000A654: D3D700F4 1FD25DAE
	s_addk_i32 s80, 0x80                                       // 00000000A65C: B7500080
	s_cmp_lt_i32 s80, s81                                      // 00000000A660: BF045150
	s_cbranch_scc0 label_1F1E                                  // 00000000A664: BF840001
	s_branch label_1B19                                        // 00000000A668: BF82FBFB

000000000000a66c <label_1F1E>:
	v_cvt_f32_i32_e32 v56, v56                                 // 00000000A66C: 7E700B38
	v_cvt_f32_i32_e32 v57, v57                                 // 00000000A670: 7E720B39
	v_cvt_f32_i32_e32 v58, v58                                 // 00000000A674: 7E740B3A
	v_cvt_f32_i32_e32 v59, v59                                 // 00000000A678: 7E760B3B
	v_mul_f32_dpp v56, v25, v56 row_newbcast:0 row_mask:0xf bank_mask:0xf// 00000000A67C: 0A7070FA FF015019
	v_mul_f32_dpp v57, v25, v57 row_newbcast:1 row_mask:0xf bank_mask:0xf// 00000000A684: 0A7272FA FF015119
	v_mul_f32_dpp v58, v25, v58 row_newbcast:2 row_mask:0xf bank_mask:0xf// 00000000A68C: 0A7474FA FF015219
	v_mul_f32_dpp v59, v25, v59 row_newbcast:3 row_mask:0xf bank_mask:0xf// 00000000A694: 0A7676FA FF015319
	v_cvt_f32_i32_e32 v60, v60                                 // 00000000A69C: 7E780B3C
	v_cvt_f32_i32_e32 v61, v61                                 // 00000000A6A0: 7E7A0B3D
	v_cvt_f32_i32_e32 v62, v62                                 // 00000000A6A4: 7E7C0B3E
	v_cvt_f32_i32_e32 v63, v63                                 // 00000000A6A8: 7E7E0B3F
	v_mul_f32_dpp v60, v25, v60 row_newbcast:0 row_mask:0xf bank_mask:0xf// 00000000A6AC: 0A7878FA FF015019
	v_mul_f32_dpp v61, v25, v61 row_newbcast:1 row_mask:0xf bank_mask:0xf// 00000000A6B4: 0A7A7AFA FF015119
	v_mul_f32_dpp v62, v25, v62 row_newbcast:2 row_mask:0xf bank_mask:0xf// 00000000A6BC: 0A7C7CFA FF015219
	v_mul_f32_dpp v63, v25, v63 row_newbcast:3 row_mask:0xf bank_mask:0xf// 00000000A6C4: 0A7E7EFA FF015319
	v_cvt_f32_i32_e32 v64, v64                                 // 00000000A6CC: 7E800B40
	v_cvt_f32_i32_e32 v65, v65                                 // 00000000A6D0: 7E820B41
	v_cvt_f32_i32_e32 v66, v66                                 // 00000000A6D4: 7E840B42
	v_cvt_f32_i32_e32 v67, v67                                 // 00000000A6D8: 7E860B43
	v_mul_f32_dpp v64, v25, v64 row_newbcast:0 row_mask:0xf bank_mask:0xf// 00000000A6DC: 0A8080FA FF015019
	v_mul_f32_dpp v65, v25, v65 row_newbcast:1 row_mask:0xf bank_mask:0xf// 00000000A6E4: 0A8282FA FF015119
	v_mul_f32_dpp v66, v25, v66 row_newbcast:2 row_mask:0xf bank_mask:0xf// 00000000A6EC: 0A8484FA FF015219
	v_mul_f32_dpp v67, v25, v67 row_newbcast:3 row_mask:0xf bank_mask:0xf// 00000000A6F4: 0A8686FA FF015319
	v_cvt_f32_i32_e32 v68, v68                                 // 00000000A6FC: 7E880B44
	v_cvt_f32_i32_e32 v69, v69                                 // 00000000A700: 7E8A0B45
	v_cvt_f32_i32_e32 v70, v70                                 // 00000000A704: 7E8C0B46
	v_cvt_f32_i32_e32 v71, v71                                 // 00000000A708: 7E8E0B47
	v_mul_f32_dpp v68, v25, v68 row_newbcast:4 row_mask:0xf bank_mask:0xf// 00000000A70C: 0A8888FA FF015419
	v_mul_f32_dpp v69, v25, v69 row_newbcast:5 row_mask:0xf bank_mask:0xf// 00000000A714: 0A8A8AFA FF015519
	v_mul_f32_dpp v70, v25, v70 row_newbcast:6 row_mask:0xf bank_mask:0xf// 00000000A71C: 0A8C8CFA FF015619
	v_mul_f32_dpp v71, v25, v71 row_newbcast:7 row_mask:0xf bank_mask:0xf// 00000000A724: 0A8E8EFA FF015719
	v_cvt_f32_i32_e32 v72, v72                                 // 00000000A72C: 7E900B48
	v_cvt_f32_i32_e32 v73, v73                                 // 00000000A730: 7E920B49
	v_cvt_f32_i32_e32 v74, v74                                 // 00000000A734: 7E940B4A
	v_cvt_f32_i32_e32 v75, v75                                 // 00000000A738: 7E960B4B
	v_mul_f32_dpp v72, v25, v72 row_newbcast:4 row_mask:0xf bank_mask:0xf// 00000000A73C: 0A9090FA FF015419
	v_mul_f32_dpp v73, v25, v73 row_newbcast:5 row_mask:0xf bank_mask:0xf// 00000000A744: 0A9292FA FF015519
	v_mul_f32_dpp v74, v25, v74 row_newbcast:6 row_mask:0xf bank_mask:0xf// 00000000A74C: 0A9494FA FF015619
	v_mul_f32_dpp v75, v25, v75 row_newbcast:7 row_mask:0xf bank_mask:0xf// 00000000A754: 0A9696FA FF015719
	v_cvt_f32_i32_e32 v76, v76                                 // 00000000A75C: 7E980B4C
	v_cvt_f32_i32_e32 v77, v77                                 // 00000000A760: 7E9A0B4D
	v_cvt_f32_i32_e32 v78, v78                                 // 00000000A764: 7E9C0B4E
	v_cvt_f32_i32_e32 v79, v79                                 // 00000000A768: 7E9E0B4F
	v_mul_f32_dpp v76, v25, v76 row_newbcast:4 row_mask:0xf bank_mask:0xf// 00000000A76C: 0A9898FA FF015419
	v_mul_f32_dpp v77, v25, v77 row_newbcast:5 row_mask:0xf bank_mask:0xf// 00000000A774: 0A9A9AFA FF015519
	v_mul_f32_dpp v78, v25, v78 row_newbcast:6 row_mask:0xf bank_mask:0xf// 00000000A77C: 0A9C9CFA FF015619
	v_mul_f32_dpp v79, v25, v79 row_newbcast:7 row_mask:0xf bank_mask:0xf// 00000000A784: 0A9E9EFA FF015719
	v_cvt_f32_i32_e32 v80, v80                                 // 00000000A78C: 7EA00B50
	v_cvt_f32_i32_e32 v81, v81                                 // 00000000A790: 7EA20B51
	v_cvt_f32_i32_e32 v82, v82                                 // 00000000A794: 7EA40B52
	v_cvt_f32_i32_e32 v83, v83                                 // 00000000A798: 7EA60B53
	v_mul_f32_dpp v80, v25, v80 row_newbcast:8 row_mask:0xf bank_mask:0xf// 00000000A79C: 0AA0A0FA FF015819
	v_mul_f32_dpp v81, v25, v81 row_newbcast:9 row_mask:0xf bank_mask:0xf// 00000000A7A4: 0AA2A2FA FF015919
	v_mul_f32_dpp v82, v25, v82 row_newbcast:10 row_mask:0xf bank_mask:0xf// 00000000A7AC: 0AA4A4FA FF015A19
	v_mul_f32_dpp v83, v25, v83 row_newbcast:11 row_mask:0xf bank_mask:0xf// 00000000A7B4: 0AA6A6FA FF015B19
	v_cvt_f32_i32_e32 v84, v84                                 // 00000000A7BC: 7EA80B54
	v_cvt_f32_i32_e32 v85, v85                                 // 00000000A7C0: 7EAA0B55
	v_cvt_f32_i32_e32 v86, v86                                 // 00000000A7C4: 7EAC0B56
	v_cvt_f32_i32_e32 v87, v87                                 // 00000000A7C8: 7EAE0B57
	v_mul_f32_dpp v84, v25, v84 row_newbcast:8 row_mask:0xf bank_mask:0xf// 00000000A7CC: 0AA8A8FA FF015819
	v_mul_f32_dpp v85, v25, v85 row_newbcast:9 row_mask:0xf bank_mask:0xf// 00000000A7D4: 0AAAAAFA FF015919
	v_mul_f32_dpp v86, v25, v86 row_newbcast:10 row_mask:0xf bank_mask:0xf// 00000000A7DC: 0AACACFA FF015A19
	v_mul_f32_dpp v87, v25, v87 row_newbcast:11 row_mask:0xf bank_mask:0xf// 00000000A7E4: 0AAEAEFA FF015B19
	v_cvt_f32_i32_e32 v88, v88                                 // 00000000A7EC: 7EB00B58
	v_cvt_f32_i32_e32 v89, v89                                 // 00000000A7F0: 7EB20B59
	v_cvt_f32_i32_e32 v90, v90                                 // 00000000A7F4: 7EB40B5A
	v_cvt_f32_i32_e32 v91, v91                                 // 00000000A7F8: 7EB60B5B
	v_mul_f32_dpp v88, v25, v88 row_newbcast:8 row_mask:0xf bank_mask:0xf// 00000000A7FC: 0AB0B0FA FF015819
	v_mul_f32_dpp v89, v25, v89 row_newbcast:9 row_mask:0xf bank_mask:0xf// 00000000A804: 0AB2B2FA FF015919
	v_mul_f32_dpp v90, v25, v90 row_newbcast:10 row_mask:0xf bank_mask:0xf// 00000000A80C: 0AB4B4FA FF015A19
	v_mul_f32_dpp v91, v25, v91 row_newbcast:11 row_mask:0xf bank_mask:0xf// 00000000A814: 0AB6B6FA FF015B19
	v_cvt_f32_i32_e32 v92, v92                                 // 00000000A81C: 7EB80B5C
	v_cvt_f32_i32_e32 v93, v93                                 // 00000000A820: 7EBA0B5D
	v_cvt_f32_i32_e32 v94, v94                                 // 00000000A824: 7EBC0B5E
	v_cvt_f32_i32_e32 v95, v95                                 // 00000000A828: 7EBE0B5F
	v_mul_f32_dpp v92, v25, v92 row_newbcast:12 row_mask:0xf bank_mask:0xf// 00000000A82C: 0AB8B8FA FF015C19
	v_mul_f32_dpp v93, v25, v93 row_newbcast:13 row_mask:0xf bank_mask:0xf// 00000000A834: 0ABABAFA FF015D19
	v_mul_f32_dpp v94, v25, v94 row_newbcast:14 row_mask:0xf bank_mask:0xf// 00000000A83C: 0ABCBCFA FF015E19
	v_mul_f32_dpp v95, v25, v95 row_newbcast:15 row_mask:0xf bank_mask:0xf// 00000000A844: 0ABEBEFA FF015F19
	v_cvt_f32_i32_e32 v96, v96                                 // 00000000A84C: 7EC00B60
	v_cvt_f32_i32_e32 v97, v97                                 // 00000000A850: 7EC20B61
	v_cvt_f32_i32_e32 v98, v98                                 // 00000000A854: 7EC40B62
	v_cvt_f32_i32_e32 v99, v99                                 // 00000000A858: 7EC60B63
	v_mul_f32_dpp v96, v25, v96 row_newbcast:12 row_mask:0xf bank_mask:0xf// 00000000A85C: 0AC0C0FA FF015C19
	v_mul_f32_dpp v97, v25, v97 row_newbcast:13 row_mask:0xf bank_mask:0xf// 00000000A864: 0AC2C2FA FF015D19
	v_mul_f32_dpp v98, v25, v98 row_newbcast:14 row_mask:0xf bank_mask:0xf// 00000000A86C: 0AC4C4FA FF015E19
	v_mul_f32_dpp v99, v25, v99 row_newbcast:15 row_mask:0xf bank_mask:0xf// 00000000A874: 0AC6C6FA FF015F19
	v_cvt_f32_i32_e32 v100, v100                               // 00000000A87C: 7EC80B64
	v_cvt_f32_i32_e32 v101, v101                               // 00000000A880: 7ECA0B65
	v_cvt_f32_i32_e32 v102, v102                               // 00000000A884: 7ECC0B66
	v_cvt_f32_i32_e32 v103, v103                               // 00000000A888: 7ECE0B67
	v_mul_f32_dpp v100, v25, v100 row_newbcast:12 row_mask:0xf bank_mask:0xf// 00000000A88C: 0AC8C8FA FF015C19
	v_mul_f32_dpp v101, v25, v101 row_newbcast:13 row_mask:0xf bank_mask:0xf// 00000000A894: 0ACACAFA FF015D19
	v_mul_f32_dpp v102, v25, v102 row_newbcast:14 row_mask:0xf bank_mask:0xf// 00000000A89C: 0ACCCCFA FF015E19
	v_mul_f32_dpp v103, v25, v103 row_newbcast:15 row_mask:0xf bank_mask:0xf// 00000000A8A4: 0ACECEFA FF015F19
	v_cvt_f32_i32_e32 v104, v104                               // 00000000A8AC: 7ED00B68
	v_cvt_f32_i32_e32 v105, v105                               // 00000000A8B0: 7ED20B69
	v_cvt_f32_i32_e32 v106, v106                               // 00000000A8B4: 7ED40B6A
	v_cvt_f32_i32_e32 v107, v107                               // 00000000A8B8: 7ED60B6B
	v_mul_f32_dpp v104, v26, v104 row_newbcast:0 row_mask:0xf bank_mask:0xf// 00000000A8BC: 0AD0D0FA FF01501A
	v_mul_f32_dpp v105, v26, v105 row_newbcast:1 row_mask:0xf bank_mask:0xf// 00000000A8C4: 0AD2D2FA FF01511A
	v_mul_f32_dpp v106, v26, v106 row_newbcast:2 row_mask:0xf bank_mask:0xf// 00000000A8CC: 0AD4D4FA FF01521A
	v_mul_f32_dpp v107, v26, v107 row_newbcast:3 row_mask:0xf bank_mask:0xf// 00000000A8D4: 0AD6D6FA FF01531A
	v_cvt_f32_i32_e32 v108, v108                               // 00000000A8DC: 7ED80B6C
	v_cvt_f32_i32_e32 v109, v109                               // 00000000A8E0: 7EDA0B6D
	v_cvt_f32_i32_e32 v110, v110                               // 00000000A8E4: 7EDC0B6E
	v_cvt_f32_i32_e32 v111, v111                               // 00000000A8E8: 7EDE0B6F
	v_mul_f32_dpp v108, v26, v108 row_newbcast:0 row_mask:0xf bank_mask:0xf// 00000000A8EC: 0AD8D8FA FF01501A
	v_mul_f32_dpp v109, v26, v109 row_newbcast:1 row_mask:0xf bank_mask:0xf// 00000000A8F4: 0ADADAFA FF01511A
	v_mul_f32_dpp v110, v26, v110 row_newbcast:2 row_mask:0xf bank_mask:0xf// 00000000A8FC: 0ADCDCFA FF01521A
	v_mul_f32_dpp v111, v26, v111 row_newbcast:3 row_mask:0xf bank_mask:0xf// 00000000A904: 0ADEDEFA FF01531A
	v_cvt_f32_i32_e32 v112, v112                               // 00000000A90C: 7EE00B70
	v_cvt_f32_i32_e32 v113, v113                               // 00000000A910: 7EE20B71
	v_cvt_f32_i32_e32 v114, v114                               // 00000000A914: 7EE40B72
	v_cvt_f32_i32_e32 v115, v115                               // 00000000A918: 7EE60B73
	v_mul_f32_dpp v112, v26, v112 row_newbcast:0 row_mask:0xf bank_mask:0xf// 00000000A91C: 0AE0E0FA FF01501A
	v_mul_f32_dpp v113, v26, v113 row_newbcast:1 row_mask:0xf bank_mask:0xf// 00000000A924: 0AE2E2FA FF01511A
	v_mul_f32_dpp v114, v26, v114 row_newbcast:2 row_mask:0xf bank_mask:0xf// 00000000A92C: 0AE4E4FA FF01521A
	v_mul_f32_dpp v115, v26, v115 row_newbcast:3 row_mask:0xf bank_mask:0xf// 00000000A934: 0AE6E6FA FF01531A
	v_cvt_f32_i32_e32 v116, v116                               // 00000000A93C: 7EE80B74
	v_cvt_f32_i32_e32 v117, v117                               // 00000000A940: 7EEA0B75
	v_cvt_f32_i32_e32 v118, v118                               // 00000000A944: 7EEC0B76
	v_cvt_f32_i32_e32 v119, v119                               // 00000000A948: 7EEE0B77
	v_mul_f32_dpp v116, v26, v116 row_newbcast:4 row_mask:0xf bank_mask:0xf// 00000000A94C: 0AE8E8FA FF01541A
	v_mul_f32_dpp v117, v26, v117 row_newbcast:5 row_mask:0xf bank_mask:0xf// 00000000A954: 0AEAEAFA FF01551A
	v_mul_f32_dpp v118, v26, v118 row_newbcast:6 row_mask:0xf bank_mask:0xf// 00000000A95C: 0AECECFA FF01561A
	v_mul_f32_dpp v119, v26, v119 row_newbcast:7 row_mask:0xf bank_mask:0xf// 00000000A964: 0AEEEEFA FF01571A
	v_cvt_f32_i32_e32 v120, v120                               // 00000000A96C: 7EF00B78
	v_cvt_f32_i32_e32 v121, v121                               // 00000000A970: 7EF20B79
	v_cvt_f32_i32_e32 v122, v122                               // 00000000A974: 7EF40B7A
	v_cvt_f32_i32_e32 v123, v123                               // 00000000A978: 7EF60B7B
	v_mul_f32_dpp v120, v26, v120 row_newbcast:4 row_mask:0xf bank_mask:0xf// 00000000A97C: 0AF0F0FA FF01541A
	v_mul_f32_dpp v121, v26, v121 row_newbcast:5 row_mask:0xf bank_mask:0xf// 00000000A984: 0AF2F2FA FF01551A
	v_mul_f32_dpp v122, v26, v122 row_newbcast:6 row_mask:0xf bank_mask:0xf// 00000000A98C: 0AF4F4FA FF01561A
	v_mul_f32_dpp v123, v26, v123 row_newbcast:7 row_mask:0xf bank_mask:0xf// 00000000A994: 0AF6F6FA FF01571A
	v_cvt_f32_i32_e32 v124, v124                               // 00000000A99C: 7EF80B7C
	v_cvt_f32_i32_e32 v125, v125                               // 00000000A9A0: 7EFA0B7D
	v_cvt_f32_i32_e32 v126, v126                               // 00000000A9A4: 7EFC0B7E
	v_cvt_f32_i32_e32 v127, v127                               // 00000000A9A8: 7EFE0B7F
	v_mul_f32_dpp v124, v26, v124 row_newbcast:4 row_mask:0xf bank_mask:0xf// 00000000A9AC: 0AF8F8FA FF01541A
	v_mul_f32_dpp v125, v26, v125 row_newbcast:5 row_mask:0xf bank_mask:0xf// 00000000A9B4: 0AFAFAFA FF01551A
	v_mul_f32_dpp v126, v26, v126 row_newbcast:6 row_mask:0xf bank_mask:0xf// 00000000A9BC: 0AFCFCFA FF01561A
	v_mul_f32_dpp v127, v26, v127 row_newbcast:7 row_mask:0xf bank_mask:0xf// 00000000A9C4: 0AFEFEFA FF01571A
	v_cvt_f32_i32_e32 v128, v128                               // 00000000A9CC: 7F000B80
	v_cvt_f32_i32_e32 v129, v129                               // 00000000A9D0: 7F020B81
	v_cvt_f32_i32_e32 v130, v130                               // 00000000A9D4: 7F040B82
	v_cvt_f32_i32_e32 v131, v131                               // 00000000A9D8: 7F060B83
	v_mul_f32_dpp v128, v26, v128 row_newbcast:8 row_mask:0xf bank_mask:0xf// 00000000A9DC: 0B0100FA FF01581A
	v_mul_f32_dpp v129, v26, v129 row_newbcast:9 row_mask:0xf bank_mask:0xf// 00000000A9E4: 0B0302FA FF01591A
	v_mul_f32_dpp v130, v26, v130 row_newbcast:10 row_mask:0xf bank_mask:0xf// 00000000A9EC: 0B0504FA FF015A1A
	v_mul_f32_dpp v131, v26, v131 row_newbcast:11 row_mask:0xf bank_mask:0xf// 00000000A9F4: 0B0706FA FF015B1A
	v_cvt_f32_i32_e32 v132, v132                               // 00000000A9FC: 7F080B84
	v_cvt_f32_i32_e32 v133, v133                               // 00000000AA00: 7F0A0B85
	v_cvt_f32_i32_e32 v134, v134                               // 00000000AA04: 7F0C0B86
	v_cvt_f32_i32_e32 v135, v135                               // 00000000AA08: 7F0E0B87
	v_mul_f32_dpp v132, v26, v132 row_newbcast:8 row_mask:0xf bank_mask:0xf// 00000000AA0C: 0B0908FA FF01581A
	v_mul_f32_dpp v133, v26, v133 row_newbcast:9 row_mask:0xf bank_mask:0xf// 00000000AA14: 0B0B0AFA FF01591A
	v_mul_f32_dpp v134, v26, v134 row_newbcast:10 row_mask:0xf bank_mask:0xf// 00000000AA1C: 0B0D0CFA FF015A1A
	v_mul_f32_dpp v135, v26, v135 row_newbcast:11 row_mask:0xf bank_mask:0xf// 00000000AA24: 0B0F0EFA FF015B1A
	v_cvt_f32_i32_e32 v136, v136                               // 00000000AA2C: 7F100B88
	v_cvt_f32_i32_e32 v137, v137                               // 00000000AA30: 7F120B89
	v_cvt_f32_i32_e32 v138, v138                               // 00000000AA34: 7F140B8A
	v_cvt_f32_i32_e32 v139, v139                               // 00000000AA38: 7F160B8B
	v_mul_f32_dpp v136, v26, v136 row_newbcast:8 row_mask:0xf bank_mask:0xf// 00000000AA3C: 0B1110FA FF01581A
	v_mul_f32_dpp v137, v26, v137 row_newbcast:9 row_mask:0xf bank_mask:0xf// 00000000AA44: 0B1312FA FF01591A
	v_mul_f32_dpp v138, v26, v138 row_newbcast:10 row_mask:0xf bank_mask:0xf// 00000000AA4C: 0B1514FA FF015A1A
	v_mul_f32_dpp v139, v26, v139 row_newbcast:11 row_mask:0xf bank_mask:0xf// 00000000AA54: 0B1716FA FF015B1A
	v_cvt_f32_i32_e32 v140, v140                               // 00000000AA5C: 7F180B8C
	v_cvt_f32_i32_e32 v141, v141                               // 00000000AA60: 7F1A0B8D
	v_cvt_f32_i32_e32 v142, v142                               // 00000000AA64: 7F1C0B8E
	v_cvt_f32_i32_e32 v143, v143                               // 00000000AA68: 7F1E0B8F
	v_mul_f32_dpp v140, v26, v140 row_newbcast:12 row_mask:0xf bank_mask:0xf// 00000000AA6C: 0B1918FA FF015C1A
	v_mul_f32_dpp v141, v26, v141 row_newbcast:13 row_mask:0xf bank_mask:0xf// 00000000AA74: 0B1B1AFA FF015D1A
	v_mul_f32_dpp v142, v26, v142 row_newbcast:14 row_mask:0xf bank_mask:0xf// 00000000AA7C: 0B1D1CFA FF015E1A
	v_mul_f32_dpp v143, v26, v143 row_newbcast:15 row_mask:0xf bank_mask:0xf// 00000000AA84: 0B1F1EFA FF015F1A
	v_cvt_f32_i32_e32 v144, v144                               // 00000000AA8C: 7F200B90
	v_cvt_f32_i32_e32 v145, v145                               // 00000000AA90: 7F220B91
	v_cvt_f32_i32_e32 v146, v146                               // 00000000AA94: 7F240B92
	v_cvt_f32_i32_e32 v147, v147                               // 00000000AA98: 7F260B93
	v_mul_f32_dpp v144, v26, v144 row_newbcast:12 row_mask:0xf bank_mask:0xf// 00000000AA9C: 0B2120FA FF015C1A
	v_mul_f32_dpp v145, v26, v145 row_newbcast:13 row_mask:0xf bank_mask:0xf// 00000000AAA4: 0B2322FA FF015D1A
	v_mul_f32_dpp v146, v26, v146 row_newbcast:14 row_mask:0xf bank_mask:0xf// 00000000AAAC: 0B2524FA FF015E1A
	v_mul_f32_dpp v147, v26, v147 row_newbcast:15 row_mask:0xf bank_mask:0xf// 00000000AAB4: 0B2726FA FF015F1A
	v_cvt_f32_i32_e32 v148, v148                               // 00000000AABC: 7F280B94
	v_cvt_f32_i32_e32 v149, v149                               // 00000000AAC0: 7F2A0B95
	v_cvt_f32_i32_e32 v150, v150                               // 00000000AAC4: 7F2C0B96
	v_cvt_f32_i32_e32 v151, v151                               // 00000000AAC8: 7F2E0B97
	v_mul_f32_dpp v148, v26, v148 row_newbcast:12 row_mask:0xf bank_mask:0xf// 00000000AACC: 0B2928FA FF015C1A
	v_mul_f32_dpp v149, v26, v149 row_newbcast:13 row_mask:0xf bank_mask:0xf// 00000000AAD4: 0B2B2AFA FF015D1A
	v_mul_f32_dpp v150, v26, v150 row_newbcast:14 row_mask:0xf bank_mask:0xf// 00000000AADC: 0B2D2CFA FF015E1A
	v_mul_f32_dpp v151, v26, v151 row_newbcast:15 row_mask:0xf bank_mask:0xf// 00000000AAE4: 0B2F2EFA FF015F1A
	v_cvt_f32_i32_e32 v152, v152                               // 00000000AAEC: 7F300B98
	v_cvt_f32_i32_e32 v153, v153                               // 00000000AAF0: 7F320B99
	v_cvt_f32_i32_e32 v154, v154                               // 00000000AAF4: 7F340B9A
	v_cvt_f32_i32_e32 v155, v155                               // 00000000AAF8: 7F360B9B
	v_mul_f32_dpp v152, v27, v152 row_newbcast:0 row_mask:0xf bank_mask:0xf// 00000000AAFC: 0B3130FA FF01501B
	v_mul_f32_dpp v153, v27, v153 row_newbcast:1 row_mask:0xf bank_mask:0xf// 00000000AB04: 0B3332FA FF01511B
	v_mul_f32_dpp v154, v27, v154 row_newbcast:2 row_mask:0xf bank_mask:0xf// 00000000AB0C: 0B3534FA FF01521B
	v_mul_f32_dpp v155, v27, v155 row_newbcast:3 row_mask:0xf bank_mask:0xf// 00000000AB14: 0B3736FA FF01531B
	v_cvt_f32_i32_e32 v156, v156                               // 00000000AB1C: 7F380B9C
	v_cvt_f32_i32_e32 v157, v157                               // 00000000AB20: 7F3A0B9D
	v_cvt_f32_i32_e32 v158, v158                               // 00000000AB24: 7F3C0B9E
	v_cvt_f32_i32_e32 v159, v159                               // 00000000AB28: 7F3E0B9F
	v_mul_f32_dpp v156, v27, v156 row_newbcast:0 row_mask:0xf bank_mask:0xf// 00000000AB2C: 0B3938FA FF01501B
	v_mul_f32_dpp v157, v27, v157 row_newbcast:1 row_mask:0xf bank_mask:0xf// 00000000AB34: 0B3B3AFA FF01511B
	v_mul_f32_dpp v158, v27, v158 row_newbcast:2 row_mask:0xf bank_mask:0xf// 00000000AB3C: 0B3D3CFA FF01521B
	v_mul_f32_dpp v159, v27, v159 row_newbcast:3 row_mask:0xf bank_mask:0xf// 00000000AB44: 0B3F3EFA FF01531B
	v_cvt_f32_i32_e32 v160, v160                               // 00000000AB4C: 7F400BA0
	v_cvt_f32_i32_e32 v161, v161                               // 00000000AB50: 7F420BA1
	v_cvt_f32_i32_e32 v162, v162                               // 00000000AB54: 7F440BA2
	v_cvt_f32_i32_e32 v163, v163                               // 00000000AB58: 7F460BA3
	v_mul_f32_dpp v160, v27, v160 row_newbcast:0 row_mask:0xf bank_mask:0xf// 00000000AB5C: 0B4140FA FF01501B
	v_mul_f32_dpp v161, v27, v161 row_newbcast:1 row_mask:0xf bank_mask:0xf// 00000000AB64: 0B4342FA FF01511B
	v_mul_f32_dpp v162, v27, v162 row_newbcast:2 row_mask:0xf bank_mask:0xf// 00000000AB6C: 0B4544FA FF01521B
	v_mul_f32_dpp v163, v27, v163 row_newbcast:3 row_mask:0xf bank_mask:0xf// 00000000AB74: 0B4746FA FF01531B
	v_cvt_f32_i32_e32 v164, v164                               // 00000000AB7C: 7F480BA4
	v_cvt_f32_i32_e32 v165, v165                               // 00000000AB80: 7F4A0BA5
	v_cvt_f32_i32_e32 v166, v166                               // 00000000AB84: 7F4C0BA6
	v_cvt_f32_i32_e32 v167, v167                               // 00000000AB88: 7F4E0BA7
	v_mul_f32_dpp v164, v27, v164 row_newbcast:4 row_mask:0xf bank_mask:0xf// 00000000AB8C: 0B4948FA FF01541B
	v_mul_f32_dpp v165, v27, v165 row_newbcast:5 row_mask:0xf bank_mask:0xf// 00000000AB94: 0B4B4AFA FF01551B
	v_mul_f32_dpp v166, v27, v166 row_newbcast:6 row_mask:0xf bank_mask:0xf// 00000000AB9C: 0B4D4CFA FF01561B
	v_mul_f32_dpp v167, v27, v167 row_newbcast:7 row_mask:0xf bank_mask:0xf// 00000000ABA4: 0B4F4EFA FF01571B
	v_cvt_f32_i32_e32 v168, v168                               // 00000000ABAC: 7F500BA8
	v_cvt_f32_i32_e32 v169, v169                               // 00000000ABB0: 7F520BA9
	v_cvt_f32_i32_e32 v170, v170                               // 00000000ABB4: 7F540BAA
	v_cvt_f32_i32_e32 v171, v171                               // 00000000ABB8: 7F560BAB
	v_mul_f32_dpp v168, v27, v168 row_newbcast:4 row_mask:0xf bank_mask:0xf// 00000000ABBC: 0B5150FA FF01541B
	v_mul_f32_dpp v169, v27, v169 row_newbcast:5 row_mask:0xf bank_mask:0xf// 00000000ABC4: 0B5352FA FF01551B
	v_mul_f32_dpp v170, v27, v170 row_newbcast:6 row_mask:0xf bank_mask:0xf// 00000000ABCC: 0B5554FA FF01561B
	v_mul_f32_dpp v171, v27, v171 row_newbcast:7 row_mask:0xf bank_mask:0xf// 00000000ABD4: 0B5756FA FF01571B
	v_cvt_f32_i32_e32 v172, v172                               // 00000000ABDC: 7F580BAC
	v_cvt_f32_i32_e32 v173, v173                               // 00000000ABE0: 7F5A0BAD
	v_cvt_f32_i32_e32 v174, v174                               // 00000000ABE4: 7F5C0BAE
	v_cvt_f32_i32_e32 v175, v175                               // 00000000ABE8: 7F5E0BAF
	v_mul_f32_dpp v172, v27, v172 row_newbcast:4 row_mask:0xf bank_mask:0xf// 00000000ABEC: 0B5958FA FF01541B
	v_mul_f32_dpp v173, v27, v173 row_newbcast:5 row_mask:0xf bank_mask:0xf// 00000000ABF4: 0B5B5AFA FF01551B
	v_mul_f32_dpp v174, v27, v174 row_newbcast:6 row_mask:0xf bank_mask:0xf// 00000000ABFC: 0B5D5CFA FF01561B
	v_mul_f32_dpp v175, v27, v175 row_newbcast:7 row_mask:0xf bank_mask:0xf// 00000000AC04: 0B5F5EFA FF01571B
	v_cvt_f32_i32_e32 v176, v176                               // 00000000AC0C: 7F600BB0
	v_cvt_f32_i32_e32 v177, v177                               // 00000000AC10: 7F620BB1
	v_cvt_f32_i32_e32 v178, v178                               // 00000000AC14: 7F640BB2
	v_cvt_f32_i32_e32 v179, v179                               // 00000000AC18: 7F660BB3
	v_mul_f32_dpp v176, v27, v176 row_newbcast:8 row_mask:0xf bank_mask:0xf// 00000000AC1C: 0B6160FA FF01581B
	v_mul_f32_dpp v177, v27, v177 row_newbcast:9 row_mask:0xf bank_mask:0xf// 00000000AC24: 0B6362FA FF01591B
	v_mul_f32_dpp v178, v27, v178 row_newbcast:10 row_mask:0xf bank_mask:0xf// 00000000AC2C: 0B6564FA FF015A1B
	v_mul_f32_dpp v179, v27, v179 row_newbcast:11 row_mask:0xf bank_mask:0xf// 00000000AC34: 0B6766FA FF015B1B
	v_cvt_f32_i32_e32 v180, v180                               // 00000000AC3C: 7F680BB4
	v_cvt_f32_i32_e32 v181, v181                               // 00000000AC40: 7F6A0BB5
	v_cvt_f32_i32_e32 v182, v182                               // 00000000AC44: 7F6C0BB6
	v_cvt_f32_i32_e32 v183, v183                               // 00000000AC48: 7F6E0BB7
	v_mul_f32_dpp v180, v27, v180 row_newbcast:8 row_mask:0xf bank_mask:0xf// 00000000AC4C: 0B6968FA FF01581B
	v_mul_f32_dpp v181, v27, v181 row_newbcast:9 row_mask:0xf bank_mask:0xf// 00000000AC54: 0B6B6AFA FF01591B
	v_mul_f32_dpp v182, v27, v182 row_newbcast:10 row_mask:0xf bank_mask:0xf// 00000000AC5C: 0B6D6CFA FF015A1B
	v_mul_f32_dpp v183, v27, v183 row_newbcast:11 row_mask:0xf bank_mask:0xf// 00000000AC64: 0B6F6EFA FF015B1B
	v_cvt_f32_i32_e32 v184, v184                               // 00000000AC6C: 7F700BB8
	v_cvt_f32_i32_e32 v185, v185                               // 00000000AC70: 7F720BB9
	v_cvt_f32_i32_e32 v186, v186                               // 00000000AC74: 7F740BBA
	v_cvt_f32_i32_e32 v187, v187                               // 00000000AC78: 7F760BBB
	v_mul_f32_dpp v184, v27, v184 row_newbcast:8 row_mask:0xf bank_mask:0xf// 00000000AC7C: 0B7170FA FF01581B
	v_mul_f32_dpp v185, v27, v185 row_newbcast:9 row_mask:0xf bank_mask:0xf// 00000000AC84: 0B7372FA FF01591B
	v_mul_f32_dpp v186, v27, v186 row_newbcast:10 row_mask:0xf bank_mask:0xf// 00000000AC8C: 0B7574FA FF015A1B
	v_mul_f32_dpp v187, v27, v187 row_newbcast:11 row_mask:0xf bank_mask:0xf// 00000000AC94: 0B7776FA FF015B1B
	v_cvt_f32_i32_e32 v188, v188                               // 00000000AC9C: 7F780BBC
	v_cvt_f32_i32_e32 v189, v189                               // 00000000ACA0: 7F7A0BBD
	v_cvt_f32_i32_e32 v190, v190                               // 00000000ACA4: 7F7C0BBE
	v_cvt_f32_i32_e32 v191, v191                               // 00000000ACA8: 7F7E0BBF
	v_mul_f32_dpp v188, v27, v188 row_newbcast:12 row_mask:0xf bank_mask:0xf// 00000000ACAC: 0B7978FA FF015C1B
	v_mul_f32_dpp v189, v27, v189 row_newbcast:13 row_mask:0xf bank_mask:0xf// 00000000ACB4: 0B7B7AFA FF015D1B
	v_mul_f32_dpp v190, v27, v190 row_newbcast:14 row_mask:0xf bank_mask:0xf// 00000000ACBC: 0B7D7CFA FF015E1B
	v_mul_f32_dpp v191, v27, v191 row_newbcast:15 row_mask:0xf bank_mask:0xf// 00000000ACC4: 0B7F7EFA FF015F1B
	v_cvt_f32_i32_e32 v192, v192                               // 00000000ACCC: 7F800BC0
	v_cvt_f32_i32_e32 v193, v193                               // 00000000ACD0: 7F820BC1
	v_cvt_f32_i32_e32 v194, v194                               // 00000000ACD4: 7F840BC2
	v_cvt_f32_i32_e32 v195, v195                               // 00000000ACD8: 7F860BC3
	v_mul_f32_dpp v192, v27, v192 row_newbcast:12 row_mask:0xf bank_mask:0xf// 00000000ACDC: 0B8180FA FF015C1B
	v_mul_f32_dpp v193, v27, v193 row_newbcast:13 row_mask:0xf bank_mask:0xf// 00000000ACE4: 0B8382FA FF015D1B
	v_mul_f32_dpp v194, v27, v194 row_newbcast:14 row_mask:0xf bank_mask:0xf// 00000000ACEC: 0B8584FA FF015E1B
	v_mul_f32_dpp v195, v27, v195 row_newbcast:15 row_mask:0xf bank_mask:0xf// 00000000ACF4: 0B8786FA FF015F1B
	v_cvt_f32_i32_e32 v196, v196                               // 00000000ACFC: 7F880BC4
	v_cvt_f32_i32_e32 v197, v197                               // 00000000AD00: 7F8A0BC5
	v_cvt_f32_i32_e32 v198, v198                               // 00000000AD04: 7F8C0BC6
	v_cvt_f32_i32_e32 v199, v199                               // 00000000AD08: 7F8E0BC7
	v_mul_f32_dpp v196, v27, v196 row_newbcast:12 row_mask:0xf bank_mask:0xf// 00000000AD0C: 0B8988FA FF015C1B
	v_mul_f32_dpp v197, v27, v197 row_newbcast:13 row_mask:0xf bank_mask:0xf// 00000000AD14: 0B8B8AFA FF015D1B
	v_mul_f32_dpp v198, v27, v198 row_newbcast:14 row_mask:0xf bank_mask:0xf// 00000000AD1C: 0B8D8CFA FF015E1B
	v_mul_f32_dpp v199, v27, v199 row_newbcast:15 row_mask:0xf bank_mask:0xf// 00000000AD24: 0B8F8EFA FF015F1B
	v_cvt_f32_i32_e32 v200, v200                               // 00000000AD2C: 7F900BC8
	v_cvt_f32_i32_e32 v201, v201                               // 00000000AD30: 7F920BC9
	v_cvt_f32_i32_e32 v202, v202                               // 00000000AD34: 7F940BCA
	v_cvt_f32_i32_e32 v203, v203                               // 00000000AD38: 7F960BCB
	v_mul_f32_dpp v200, v28, v200 row_newbcast:0 row_mask:0xf bank_mask:0xf// 00000000AD3C: 0B9190FA FF01501C
	v_mul_f32_dpp v201, v28, v201 row_newbcast:1 row_mask:0xf bank_mask:0xf// 00000000AD44: 0B9392FA FF01511C
	v_mul_f32_dpp v202, v28, v202 row_newbcast:2 row_mask:0xf bank_mask:0xf// 00000000AD4C: 0B9594FA FF01521C
	v_mul_f32_dpp v203, v28, v203 row_newbcast:3 row_mask:0xf bank_mask:0xf// 00000000AD54: 0B9796FA FF01531C
	v_cvt_f32_i32_e32 v204, v204                               // 00000000AD5C: 7F980BCC
	v_cvt_f32_i32_e32 v205, v205                               // 00000000AD60: 7F9A0BCD
	v_cvt_f32_i32_e32 v206, v206                               // 00000000AD64: 7F9C0BCE
	v_cvt_f32_i32_e32 v207, v207                               // 00000000AD68: 7F9E0BCF
	v_mul_f32_dpp v204, v28, v204 row_newbcast:0 row_mask:0xf bank_mask:0xf// 00000000AD6C: 0B9998FA FF01501C
	v_mul_f32_dpp v205, v28, v205 row_newbcast:1 row_mask:0xf bank_mask:0xf// 00000000AD74: 0B9B9AFA FF01511C
	v_mul_f32_dpp v206, v28, v206 row_newbcast:2 row_mask:0xf bank_mask:0xf// 00000000AD7C: 0B9D9CFA FF01521C
	v_mul_f32_dpp v207, v28, v207 row_newbcast:3 row_mask:0xf bank_mask:0xf// 00000000AD84: 0B9F9EFA FF01531C
	v_cvt_f32_i32_e32 v208, v208                               // 00000000AD8C: 7FA00BD0
	v_cvt_f32_i32_e32 v209, v209                               // 00000000AD90: 7FA20BD1
	v_cvt_f32_i32_e32 v210, v210                               // 00000000AD94: 7FA40BD2
	v_cvt_f32_i32_e32 v211, v211                               // 00000000AD98: 7FA60BD3
	v_mul_f32_dpp v208, v28, v208 row_newbcast:0 row_mask:0xf bank_mask:0xf// 00000000AD9C: 0BA1A0FA FF01501C
	v_mul_f32_dpp v209, v28, v209 row_newbcast:1 row_mask:0xf bank_mask:0xf// 00000000ADA4: 0BA3A2FA FF01511C
	v_mul_f32_dpp v210, v28, v210 row_newbcast:2 row_mask:0xf bank_mask:0xf// 00000000ADAC: 0BA5A4FA FF01521C
	v_mul_f32_dpp v211, v28, v211 row_newbcast:3 row_mask:0xf bank_mask:0xf// 00000000ADB4: 0BA7A6FA FF01531C
	v_cvt_f32_i32_e32 v212, v212                               // 00000000ADBC: 7FA80BD4
	v_cvt_f32_i32_e32 v213, v213                               // 00000000ADC0: 7FAA0BD5
	v_cvt_f32_i32_e32 v214, v214                               // 00000000ADC4: 7FAC0BD6
	v_cvt_f32_i32_e32 v215, v215                               // 00000000ADC8: 7FAE0BD7
	v_mul_f32_dpp v212, v28, v212 row_newbcast:4 row_mask:0xf bank_mask:0xf// 00000000ADCC: 0BA9A8FA FF01541C
	v_mul_f32_dpp v213, v28, v213 row_newbcast:5 row_mask:0xf bank_mask:0xf// 00000000ADD4: 0BABAAFA FF01551C
	v_mul_f32_dpp v214, v28, v214 row_newbcast:6 row_mask:0xf bank_mask:0xf// 00000000ADDC: 0BADACFA FF01561C
	v_mul_f32_dpp v215, v28, v215 row_newbcast:7 row_mask:0xf bank_mask:0xf// 00000000ADE4: 0BAFAEFA FF01571C
	v_cvt_f32_i32_e32 v216, v216                               // 00000000ADEC: 7FB00BD8
	v_cvt_f32_i32_e32 v217, v217                               // 00000000ADF0: 7FB20BD9
	v_cvt_f32_i32_e32 v218, v218                               // 00000000ADF4: 7FB40BDA
	v_cvt_f32_i32_e32 v219, v219                               // 00000000ADF8: 7FB60BDB
	v_mul_f32_dpp v216, v28, v216 row_newbcast:4 row_mask:0xf bank_mask:0xf// 00000000ADFC: 0BB1B0FA FF01541C
	v_mul_f32_dpp v217, v28, v217 row_newbcast:5 row_mask:0xf bank_mask:0xf// 00000000AE04: 0BB3B2FA FF01551C
	v_mul_f32_dpp v218, v28, v218 row_newbcast:6 row_mask:0xf bank_mask:0xf// 00000000AE0C: 0BB5B4FA FF01561C
	v_mul_f32_dpp v219, v28, v219 row_newbcast:7 row_mask:0xf bank_mask:0xf// 00000000AE14: 0BB7B6FA FF01571C
	v_cvt_f32_i32_e32 v220, v220                               // 00000000AE1C: 7FB80BDC
	v_cvt_f32_i32_e32 v221, v221                               // 00000000AE20: 7FBA0BDD
	v_cvt_f32_i32_e32 v222, v222                               // 00000000AE24: 7FBC0BDE
	v_cvt_f32_i32_e32 v223, v223                               // 00000000AE28: 7FBE0BDF
	v_mul_f32_dpp v220, v28, v220 row_newbcast:4 row_mask:0xf bank_mask:0xf// 00000000AE2C: 0BB9B8FA FF01541C
	v_mul_f32_dpp v221, v28, v221 row_newbcast:5 row_mask:0xf bank_mask:0xf// 00000000AE34: 0BBBBAFA FF01551C
	v_mul_f32_dpp v222, v28, v222 row_newbcast:6 row_mask:0xf bank_mask:0xf// 00000000AE3C: 0BBDBCFA FF01561C
	v_mul_f32_dpp v223, v28, v223 row_newbcast:7 row_mask:0xf bank_mask:0xf// 00000000AE44: 0BBFBEFA FF01571C
	v_cvt_f32_i32_e32 v224, v224                               // 00000000AE4C: 7FC00BE0
	v_cvt_f32_i32_e32 v225, v225                               // 00000000AE50: 7FC20BE1
	v_cvt_f32_i32_e32 v226, v226                               // 00000000AE54: 7FC40BE2
	v_cvt_f32_i32_e32 v227, v227                               // 00000000AE58: 7FC60BE3
	v_mul_f32_dpp v224, v28, v224 row_newbcast:8 row_mask:0xf bank_mask:0xf// 00000000AE5C: 0BC1C0FA FF01581C
	v_mul_f32_dpp v225, v28, v225 row_newbcast:9 row_mask:0xf bank_mask:0xf// 00000000AE64: 0BC3C2FA FF01591C
	v_mul_f32_dpp v226, v28, v226 row_newbcast:10 row_mask:0xf bank_mask:0xf// 00000000AE6C: 0BC5C4FA FF015A1C
	v_mul_f32_dpp v227, v28, v227 row_newbcast:11 row_mask:0xf bank_mask:0xf// 00000000AE74: 0BC7C6FA FF015B1C
	v_cvt_f32_i32_e32 v228, v228                               // 00000000AE7C: 7FC80BE4
	v_cvt_f32_i32_e32 v229, v229                               // 00000000AE80: 7FCA0BE5
	v_cvt_f32_i32_e32 v230, v230                               // 00000000AE84: 7FCC0BE6
	v_cvt_f32_i32_e32 v231, v231                               // 00000000AE88: 7FCE0BE7
	v_mul_f32_dpp v228, v28, v228 row_newbcast:8 row_mask:0xf bank_mask:0xf// 00000000AE8C: 0BC9C8FA FF01581C
	v_mul_f32_dpp v229, v28, v229 row_newbcast:9 row_mask:0xf bank_mask:0xf// 00000000AE94: 0BCBCAFA FF01591C
	v_mul_f32_dpp v230, v28, v230 row_newbcast:10 row_mask:0xf bank_mask:0xf// 00000000AE9C: 0BCDCCFA FF015A1C
	v_mul_f32_dpp v231, v28, v231 row_newbcast:11 row_mask:0xf bank_mask:0xf// 00000000AEA4: 0BCFCEFA FF015B1C
	v_cvt_f32_i32_e32 v232, v232                               // 00000000AEAC: 7FD00BE8
	v_cvt_f32_i32_e32 v233, v233                               // 00000000AEB0: 7FD20BE9
	v_cvt_f32_i32_e32 v234, v234                               // 00000000AEB4: 7FD40BEA
	v_cvt_f32_i32_e32 v235, v235                               // 00000000AEB8: 7FD60BEB
	v_mul_f32_dpp v232, v28, v232 row_newbcast:8 row_mask:0xf bank_mask:0xf// 00000000AEBC: 0BD1D0FA FF01581C
	v_mul_f32_dpp v233, v28, v233 row_newbcast:9 row_mask:0xf bank_mask:0xf// 00000000AEC4: 0BD3D2FA FF01591C
	v_mul_f32_dpp v234, v28, v234 row_newbcast:10 row_mask:0xf bank_mask:0xf// 00000000AECC: 0BD5D4FA FF015A1C
	v_mul_f32_dpp v235, v28, v235 row_newbcast:11 row_mask:0xf bank_mask:0xf// 00000000AED4: 0BD7D6FA FF015B1C
	v_cvt_f32_i32_e32 v236, v236                               // 00000000AEDC: 7FD80BEC
	v_cvt_f32_i32_e32 v237, v237                               // 00000000AEE0: 7FDA0BED
	v_cvt_f32_i32_e32 v238, v238                               // 00000000AEE4: 7FDC0BEE
	v_cvt_f32_i32_e32 v239, v239                               // 00000000AEE8: 7FDE0BEF
	v_mul_f32_dpp v236, v28, v236 row_newbcast:12 row_mask:0xf bank_mask:0xf// 00000000AEEC: 0BD9D8FA FF015C1C
	v_mul_f32_dpp v237, v28, v237 row_newbcast:13 row_mask:0xf bank_mask:0xf// 00000000AEF4: 0BDBDAFA FF015D1C
	v_mul_f32_dpp v238, v28, v238 row_newbcast:14 row_mask:0xf bank_mask:0xf// 00000000AEFC: 0BDDDCFA FF015E1C
	v_mul_f32_dpp v239, v28, v239 row_newbcast:15 row_mask:0xf bank_mask:0xf// 00000000AF04: 0BDFDEFA FF015F1C
	v_cvt_f32_i32_e32 v240, v240                               // 00000000AF0C: 7FE00BF0
	v_cvt_f32_i32_e32 v241, v241                               // 00000000AF10: 7FE20BF1
	v_cvt_f32_i32_e32 v242, v242                               // 00000000AF14: 7FE40BF2
	v_cvt_f32_i32_e32 v243, v243                               // 00000000AF18: 7FE60BF3
	v_mul_f32_dpp v240, v28, v240 row_newbcast:12 row_mask:0xf bank_mask:0xf// 00000000AF1C: 0BE1E0FA FF015C1C
	v_mul_f32_dpp v241, v28, v241 row_newbcast:13 row_mask:0xf bank_mask:0xf// 00000000AF24: 0BE3E2FA FF015D1C
	v_mul_f32_dpp v242, v28, v242 row_newbcast:14 row_mask:0xf bank_mask:0xf// 00000000AF2C: 0BE5E4FA FF015E1C
	v_mul_f32_dpp v243, v28, v243 row_newbcast:15 row_mask:0xf bank_mask:0xf// 00000000AF34: 0BE7E6FA FF015F1C
	v_cvt_f32_i32_e32 v244, v244                               // 00000000AF3C: 7FE80BF4
	v_cvt_f32_i32_e32 v245, v245                               // 00000000AF40: 7FEA0BF5
	v_cvt_f32_i32_e32 v246, v246                               // 00000000AF44: 7FEC0BF6
	v_cvt_f32_i32_e32 v247, v247                               // 00000000AF48: 7FEE0BF7
	v_mul_f32_dpp v244, v28, v244 row_newbcast:12 row_mask:0xf bank_mask:0xf// 00000000AF4C: 0BE9E8FA FF015C1C
	v_mul_f32_dpp v245, v28, v245 row_newbcast:13 row_mask:0xf bank_mask:0xf// 00000000AF54: 0BEBEAFA FF015D1C
	v_mul_f32_dpp v246, v28, v246 row_newbcast:14 row_mask:0xf bank_mask:0xf// 00000000AF5C: 0BEDECFA FF015E1C
	v_mul_f32_dpp v247, v28, v247 row_newbcast:15 row_mask:0xf bank_mask:0xf// 00000000AF64: 0BEFEEFA FF015F1C
	v_mov_b32_e32 v4, v32                                      // 00000000AF6C: 7E080320
	v_mov_b32_e32 v5, v4                                       // 00000000AF70: 7E0A0304
	v_pk_mul_f32 v[56:57], v[4:5], v[56:57]                    // 00000000AF74: D3B14038 18027104
	v_pk_mul_f32 v[152:153], v[4:5], v[152:153]                // 00000000AF7C: D3B14098 18033104
	v_pk_mul_f32 v[58:59], v[4:5], v[58:59]                    // 00000000AF84: D3B1403A 18027504
	v_pk_mul_f32 v[154:155], v[4:5], v[154:155]                // 00000000AF8C: D3B1409A 18033504
	v_pk_mul_f32 v[68:69], v[4:5], v[68:69]                    // 00000000AF94: D3B14044 18028904
	v_pk_mul_f32 v[164:165], v[4:5], v[164:165]                // 00000000AF9C: D3B140A4 18034904
	v_pk_mul_f32 v[70:71], v[4:5], v[70:71]                    // 00000000AFA4: D3B14046 18028D04
	v_pk_mul_f32 v[166:167], v[4:5], v[166:167]                // 00000000AFAC: D3B140A6 18034D04
	v_pk_mul_f32 v[80:81], v[4:5], v[80:81]                    // 00000000AFB4: D3B14050 1802A104
	v_pk_mul_f32 v[176:177], v[4:5], v[176:177]                // 00000000AFBC: D3B140B0 18036104
	v_pk_mul_f32 v[82:83], v[4:5], v[82:83]                    // 00000000AFC4: D3B14052 1802A504
	v_pk_mul_f32 v[178:179], v[4:5], v[178:179]                // 00000000AFCC: D3B140B2 18036504
	v_pk_mul_f32 v[92:93], v[4:5], v[92:93]                    // 00000000AFD4: D3B1405C 1802B904
	v_pk_mul_f32 v[188:189], v[4:5], v[188:189]                // 00000000AFDC: D3B140BC 18037904
	v_pk_mul_f32 v[94:95], v[4:5], v[94:95]                    // 00000000AFE4: D3B1405E 1802BD04
	v_pk_mul_f32 v[190:191], v[4:5], v[190:191]                // 00000000AFEC: D3B140BE 18037D04
	v_pk_mul_f32 v[104:105], v[4:5], v[104:105]                // 00000000AFF4: D3B14068 1802D104
	v_pk_mul_f32 v[200:201], v[4:5], v[200:201]                // 00000000AFFC: D3B140C8 18039104
	v_pk_mul_f32 v[106:107], v[4:5], v[106:107]                // 00000000B004: D3B1406A 1802D504
	v_pk_mul_f32 v[202:203], v[4:5], v[202:203]                // 00000000B00C: D3B140CA 18039504
	v_pk_mul_f32 v[116:117], v[4:5], v[116:117]                // 00000000B014: D3B14074 1802E904
	v_pk_mul_f32 v[212:213], v[4:5], v[212:213]                // 00000000B01C: D3B140D4 1803A904
	v_pk_mul_f32 v[118:119], v[4:5], v[118:119]                // 00000000B024: D3B14076 1802ED04
	v_pk_mul_f32 v[214:215], v[4:5], v[214:215]                // 00000000B02C: D3B140D6 1803AD04
	v_pk_mul_f32 v[128:129], v[4:5], v[128:129]                // 00000000B034: D3B14080 18030104
	v_pk_mul_f32 v[224:225], v[4:5], v[224:225]                // 00000000B03C: D3B140E0 1803C104
	v_pk_mul_f32 v[130:131], v[4:5], v[130:131]                // 00000000B044: D3B14082 18030504
	v_pk_mul_f32 v[226:227], v[4:5], v[226:227]                // 00000000B04C: D3B140E2 1803C504
	v_pk_mul_f32 v[140:141], v[4:5], v[140:141]                // 00000000B054: D3B1408C 18031904
	v_pk_mul_f32 v[236:237], v[4:5], v[236:237]                // 00000000B05C: D3B140EC 1803D904
	v_pk_mul_f32 v[142:143], v[4:5], v[142:143]                // 00000000B064: D3B1408E 18031D04
	v_pk_mul_f32 v[238:239], v[4:5], v[238:239]                // 00000000B06C: D3B140EE 1803DD04
	v_mov_b32_e32 v4, v33                                      // 00000000B074: 7E080321
	v_mov_b32_e32 v5, v4                                       // 00000000B078: 7E0A0304
	v_pk_mul_f32 v[60:61], v[4:5], v[60:61]                    // 00000000B07C: D3B1403C 18027904
	v_pk_mul_f32 v[156:157], v[4:5], v[156:157]                // 00000000B084: D3B1409C 18033904
	v_pk_mul_f32 v[62:63], v[4:5], v[62:63]                    // 00000000B08C: D3B1403E 18027D04
	v_pk_mul_f32 v[158:159], v[4:5], v[158:159]                // 00000000B094: D3B1409E 18033D04
	v_pk_mul_f32 v[72:73], v[4:5], v[72:73]                    // 00000000B09C: D3B14048 18029104
	v_pk_mul_f32 v[168:169], v[4:5], v[168:169]                // 00000000B0A4: D3B140A8 18035104
	v_pk_mul_f32 v[74:75], v[4:5], v[74:75]                    // 00000000B0AC: D3B1404A 18029504
	v_pk_mul_f32 v[170:171], v[4:5], v[170:171]                // 00000000B0B4: D3B140AA 18035504
	v_pk_mul_f32 v[84:85], v[4:5], v[84:85]                    // 00000000B0BC: D3B14054 1802A904
	v_pk_mul_f32 v[180:181], v[4:5], v[180:181]                // 00000000B0C4: D3B140B4 18036904
	v_pk_mul_f32 v[86:87], v[4:5], v[86:87]                    // 00000000B0CC: D3B14056 1802AD04
	v_pk_mul_f32 v[182:183], v[4:5], v[182:183]                // 00000000B0D4: D3B140B6 18036D04
	v_pk_mul_f32 v[96:97], v[4:5], v[96:97]                    // 00000000B0DC: D3B14060 1802C104
	v_pk_mul_f32 v[192:193], v[4:5], v[192:193]                // 00000000B0E4: D3B140C0 18038104
	v_pk_mul_f32 v[98:99], v[4:5], v[98:99]                    // 00000000B0EC: D3B14062 1802C504
	v_pk_mul_f32 v[194:195], v[4:5], v[194:195]                // 00000000B0F4: D3B140C2 18038504
	v_pk_mul_f32 v[108:109], v[4:5], v[108:109]                // 00000000B0FC: D3B1406C 1802D904
	v_pk_mul_f32 v[204:205], v[4:5], v[204:205]                // 00000000B104: D3B140CC 18039904
	v_pk_mul_f32 v[110:111], v[4:5], v[110:111]                // 00000000B10C: D3B1406E 1802DD04
	v_pk_mul_f32 v[206:207], v[4:5], v[206:207]                // 00000000B114: D3B140CE 18039D04
	v_pk_mul_f32 v[120:121], v[4:5], v[120:121]                // 00000000B11C: D3B14078 1802F104
	v_pk_mul_f32 v[216:217], v[4:5], v[216:217]                // 00000000B124: D3B140D8 1803B104
	v_pk_mul_f32 v[122:123], v[4:5], v[122:123]                // 00000000B12C: D3B1407A 1802F504
	v_pk_mul_f32 v[218:219], v[4:5], v[218:219]                // 00000000B134: D3B140DA 1803B504
	v_pk_mul_f32 v[132:133], v[4:5], v[132:133]                // 00000000B13C: D3B14084 18030904
	v_pk_mul_f32 v[228:229], v[4:5], v[228:229]                // 00000000B144: D3B140E4 1803C904
	v_pk_mul_f32 v[134:135], v[4:5], v[134:135]                // 00000000B14C: D3B14086 18030D04
	v_pk_mul_f32 v[230:231], v[4:5], v[230:231]                // 00000000B154: D3B140E6 1803CD04
	v_pk_mul_f32 v[144:145], v[4:5], v[144:145]                // 00000000B15C: D3B14090 18032104
	v_pk_mul_f32 v[240:241], v[4:5], v[240:241]                // 00000000B164: D3B140F0 1803E104
	v_pk_mul_f32 v[146:147], v[4:5], v[146:147]                // 00000000B16C: D3B14092 18032504
	v_pk_mul_f32 v[242:243], v[4:5], v[242:243]                // 00000000B174: D3B140F2 1803E504
	v_mov_b32_e32 v4, v34                                      // 00000000B17C: 7E080322
	v_mov_b32_e32 v5, v4                                       // 00000000B180: 7E0A0304
	v_pk_mul_f32 v[64:65], v[4:5], v[64:65]                    // 00000000B184: D3B14040 18028104
	v_pk_mul_f32 v[160:161], v[4:5], v[160:161]                // 00000000B18C: D3B140A0 18034104
	v_pk_mul_f32 v[66:67], v[4:5], v[66:67]                    // 00000000B194: D3B14042 18028504
	v_pk_mul_f32 v[162:163], v[4:5], v[162:163]                // 00000000B19C: D3B140A2 18034504
	v_pk_mul_f32 v[76:77], v[4:5], v[76:77]                    // 00000000B1A4: D3B1404C 18029904
	v_pk_mul_f32 v[172:173], v[4:5], v[172:173]                // 00000000B1AC: D3B140AC 18035904
	v_pk_mul_f32 v[78:79], v[4:5], v[78:79]                    // 00000000B1B4: D3B1404E 18029D04
	v_pk_mul_f32 v[174:175], v[4:5], v[174:175]                // 00000000B1BC: D3B140AE 18035D04
	v_pk_mul_f32 v[88:89], v[4:5], v[88:89]                    // 00000000B1C4: D3B14058 1802B104
	v_pk_mul_f32 v[184:185], v[4:5], v[184:185]                // 00000000B1CC: D3B140B8 18037104
	v_pk_mul_f32 v[90:91], v[4:5], v[90:91]                    // 00000000B1D4: D3B1405A 1802B504
	v_pk_mul_f32 v[186:187], v[4:5], v[186:187]                // 00000000B1DC: D3B140BA 18037504
	v_pk_mul_f32 v[100:101], v[4:5], v[100:101]                // 00000000B1E4: D3B14064 1802C904
	v_pk_mul_f32 v[196:197], v[4:5], v[196:197]                // 00000000B1EC: D3B140C4 18038904
	v_pk_mul_f32 v[102:103], v[4:5], v[102:103]                // 00000000B1F4: D3B14066 1802CD04
	v_pk_mul_f32 v[198:199], v[4:5], v[198:199]                // 00000000B1FC: D3B140C6 18038D04
	v_pk_mul_f32 v[112:113], v[4:5], v[112:113]                // 00000000B204: D3B14070 1802E104
	v_pk_mul_f32 v[208:209], v[4:5], v[208:209]                // 00000000B20C: D3B140D0 1803A104
	v_pk_mul_f32 v[114:115], v[4:5], v[114:115]                // 00000000B214: D3B14072 1802E504
	v_pk_mul_f32 v[210:211], v[4:5], v[210:211]                // 00000000B21C: D3B140D2 1803A504
	v_pk_mul_f32 v[124:125], v[4:5], v[124:125]                // 00000000B224: D3B1407C 1802F904
	v_pk_mul_f32 v[220:221], v[4:5], v[220:221]                // 00000000B22C: D3B140DC 1803B904
	v_pk_mul_f32 v[126:127], v[4:5], v[126:127]                // 00000000B234: D3B1407E 1802FD04
	v_pk_mul_f32 v[222:223], v[4:5], v[222:223]                // 00000000B23C: D3B140DE 1803BD04
	v_pk_mul_f32 v[136:137], v[4:5], v[136:137]                // 00000000B244: D3B14088 18031104
	v_pk_mul_f32 v[232:233], v[4:5], v[232:233]                // 00000000B24C: D3B140E8 1803D104
	v_pk_mul_f32 v[138:139], v[4:5], v[138:139]                // 00000000B254: D3B1408A 18031504
	v_pk_mul_f32 v[234:235], v[4:5], v[234:235]                // 00000000B25C: D3B140EA 1803D504
	v_pk_mul_f32 v[148:149], v[4:5], v[148:149]                // 00000000B264: D3B14094 18032904
	v_pk_mul_f32 v[244:245], v[4:5], v[244:245]                // 00000000B26C: D3B140F4 1803E904
	v_pk_mul_f32 v[150:151], v[4:5], v[150:151]                // 00000000B274: D3B14096 18032D04
	v_pk_mul_f32 v[246:247], v[4:5], v[246:247]                // 00000000B27C: D3B140F6 1803ED04
	s_cmp_eq_u32 s88, 0                                        // 00000000B284: BF068058
	s_cbranch_scc0 label_2D7B                                  // 00000000B288: BF840B55
	s_cmp_eq_u32 s89, 0                                        // 00000000B28C: BF068059
	s_cbranch_scc1 label_25ED                                  // 00000000B290: BF8503C5
	v_mov_b32_e32 v8, v1                                       // 00000000B294: 7E100301
	v_mov_b32_e32 v9, v1                                       // 00000000B298: 7E120301
	s_mov_b32 s60, s6                                          // 00000000B29C: BEBC0006
	s_mov_b32 s61, s6                                          // 00000000B2A0: BEBD0006
	v_pk_mul_f32 v[4:5], v[56:57], v[56:57]                    // 00000000B2A4: D3B14004 18027138
	v_pk_mul_f32 v[6:7], v[58:59], v[58:59]                    // 00000000B2AC: D3B14006 1802753A
	v_pk_fma_f32 v[4:5], v[4:5], s[78:79], v[8:9]              // 00000000B2B4: D3B04004 1C209D04
	v_pk_fma_f32 v[6:7], v[6:7], s[78:79], v[8:9]              // 00000000B2BC: D3B04006 1C209D06
	v_pk_mul_f32 v[4:5], v[4:5], v[56:57]                      // 00000000B2C4: D3B14004 18027104
	v_pk_mul_f32 v[6:7], v[6:7], v[58:59]                      // 00000000B2CC: D3B14006 18027506
	v_pk_mul_f32 v[4:5], v[4:5], s[60:61]                      // 00000000B2D4: D3B14004 18007904
	v_pk_mul_f32 v[6:7], v[6:7], s[60:61]                      // 00000000B2DC: D3B14006 18007906
	v_exp_f32_e32 v4, v4                                       // 00000000B2E4: 7E084104
	v_exp_f32_e32 v5, v5                                       // 00000000B2E8: 7E0A4105
	v_exp_f32_e32 v6, v6                                       // 00000000B2EC: 7E0C4106
	v_exp_f32_e32 v7, v7                                       // 00000000B2F0: 7E0E4107
	v_add_f32_e64 v4, v4, 1.0                                  // 00000000B2F4: D1010004 0001E504
	v_add_f32_e64 v5, v5, 1.0                                  // 00000000B2FC: D1010005 0001E505
	v_add_f32_e64 v6, v6, 1.0                                  // 00000000B304: D1010006 0001E506
	v_add_f32_e64 v7, v7, 1.0                                  // 00000000B30C: D1010007 0001E507
	v_rcp_f32_e32 v4, v4                                       // 00000000B314: 7E084504
	v_rcp_f32_e32 v5, v5                                       // 00000000B318: 7E0A4505
	v_rcp_f32_e32 v6, v6                                       // 00000000B31C: 7E0C4506
	v_rcp_f32_e32 v7, v7                                       // 00000000B320: 7E0E4507
	v_mul_f32_e32 v56, v56, v4                                 // 00000000B324: 0A700938
	v_mul_f32_e32 v57, v57, v5                                 // 00000000B328: 0A720B39
	v_mul_f32_e32 v58, v58, v6                                 // 00000000B32C: 0A740D3A
	v_mul_f32_e32 v59, v59, v7                                 // 00000000B330: 0A760F3B
	v_mul_f32_e32 v56, v56, v152                               // 00000000B334: 0A713138
	v_mul_f32_e32 v57, v57, v153                               // 00000000B338: 0A733339
	v_mul_f32_e32 v58, v58, v154                               // 00000000B33C: 0A75353A
	v_mul_f32_e32 v59, v59, v155                               // 00000000B340: 0A77373B
	v_pk_mul_f32 v[4:5], v[60:61], v[60:61]                    // 00000000B344: D3B14004 1802793C
	v_pk_mul_f32 v[6:7], v[62:63], v[62:63]                    // 00000000B34C: D3B14006 18027D3E
	v_pk_fma_f32 v[4:5], v[4:5], s[78:79], v[8:9]              // 00000000B354: D3B04004 1C209D04
	v_pk_fma_f32 v[6:7], v[6:7], s[78:79], v[8:9]              // 00000000B35C: D3B04006 1C209D06
	v_pk_mul_f32 v[4:5], v[4:5], v[60:61]                      // 00000000B364: D3B14004 18027904
	v_pk_mul_f32 v[6:7], v[6:7], v[62:63]                      // 00000000B36C: D3B14006 18027D06
	v_pk_mul_f32 v[4:5], v[4:5], s[60:61]                      // 00000000B374: D3B14004 18007904
	v_pk_mul_f32 v[6:7], v[6:7], s[60:61]                      // 00000000B37C: D3B14006 18007906
	v_exp_f32_e32 v4, v4                                       // 00000000B384: 7E084104
	v_exp_f32_e32 v5, v5                                       // 00000000B388: 7E0A4105
	v_exp_f32_e32 v6, v6                                       // 00000000B38C: 7E0C4106
	v_exp_f32_e32 v7, v7                                       // 00000000B390: 7E0E4107
	v_add_f32_e64 v4, v4, 1.0                                  // 00000000B394: D1010004 0001E504
	v_add_f32_e64 v5, v5, 1.0                                  // 00000000B39C: D1010005 0001E505
	v_add_f32_e64 v6, v6, 1.0                                  // 00000000B3A4: D1010006 0001E506
	v_add_f32_e64 v7, v7, 1.0                                  // 00000000B3AC: D1010007 0001E507
	v_rcp_f32_e32 v4, v4                                       // 00000000B3B4: 7E084504
	v_rcp_f32_e32 v5, v5                                       // 00000000B3B8: 7E0A4505
	v_rcp_f32_e32 v6, v6                                       // 00000000B3BC: 7E0C4506
	v_rcp_f32_e32 v7, v7                                       // 00000000B3C0: 7E0E4507
	v_mul_f32_e32 v60, v60, v4                                 // 00000000B3C4: 0A78093C
	v_mul_f32_e32 v61, v61, v5                                 // 00000000B3C8: 0A7A0B3D
	v_mul_f32_e32 v62, v62, v6                                 // 00000000B3CC: 0A7C0D3E
	v_mul_f32_e32 v63, v63, v7                                 // 00000000B3D0: 0A7E0F3F
	v_mul_f32_e32 v60, v60, v156                               // 00000000B3D4: 0A79393C
	v_mul_f32_e32 v61, v61, v157                               // 00000000B3D8: 0A7B3B3D
	v_mul_f32_e32 v62, v62, v158                               // 00000000B3DC: 0A7D3D3E
	v_mul_f32_e32 v63, v63, v159                               // 00000000B3E0: 0A7F3F3F
	v_pk_mul_f32 v[4:5], v[64:65], v[64:65]                    // 00000000B3E4: D3B14004 18028140
	v_pk_mul_f32 v[6:7], v[66:67], v[66:67]                    // 00000000B3EC: D3B14006 18028542
	v_pk_fma_f32 v[4:5], v[4:5], s[78:79], v[8:9]              // 00000000B3F4: D3B04004 1C209D04
	v_pk_fma_f32 v[6:7], v[6:7], s[78:79], v[8:9]              // 00000000B3FC: D3B04006 1C209D06
	v_pk_mul_f32 v[4:5], v[4:5], v[64:65]                      // 00000000B404: D3B14004 18028104
	v_pk_mul_f32 v[6:7], v[6:7], v[66:67]                      // 00000000B40C: D3B14006 18028506
	v_pk_mul_f32 v[4:5], v[4:5], s[60:61]                      // 00000000B414: D3B14004 18007904
	v_pk_mul_f32 v[6:7], v[6:7], s[60:61]                      // 00000000B41C: D3B14006 18007906
	v_exp_f32_e32 v4, v4                                       // 00000000B424: 7E084104
	v_exp_f32_e32 v5, v5                                       // 00000000B428: 7E0A4105
	v_exp_f32_e32 v6, v6                                       // 00000000B42C: 7E0C4106
	v_exp_f32_e32 v7, v7                                       // 00000000B430: 7E0E4107
	v_add_f32_e64 v4, v4, 1.0                                  // 00000000B434: D1010004 0001E504
	v_add_f32_e64 v5, v5, 1.0                                  // 00000000B43C: D1010005 0001E505
	v_add_f32_e64 v6, v6, 1.0                                  // 00000000B444: D1010006 0001E506
	v_add_f32_e64 v7, v7, 1.0                                  // 00000000B44C: D1010007 0001E507
	v_rcp_f32_e32 v4, v4                                       // 00000000B454: 7E084504
	v_rcp_f32_e32 v5, v5                                       // 00000000B458: 7E0A4505
	v_rcp_f32_e32 v6, v6                                       // 00000000B45C: 7E0C4506
	v_rcp_f32_e32 v7, v7                                       // 00000000B460: 7E0E4507
	v_mul_f32_e32 v64, v64, v4                                 // 00000000B464: 0A800940
	v_mul_f32_e32 v65, v65, v5                                 // 00000000B468: 0A820B41
	v_mul_f32_e32 v66, v66, v6                                 // 00000000B46C: 0A840D42
	v_mul_f32_e32 v67, v67, v7                                 // 00000000B470: 0A860F43
	v_mul_f32_e32 v64, v64, v160                               // 00000000B474: 0A814140
	v_mul_f32_e32 v65, v65, v161                               // 00000000B478: 0A834341
	v_mul_f32_e32 v66, v66, v162                               // 00000000B47C: 0A854542
	v_mul_f32_e32 v67, v67, v163                               // 00000000B480: 0A874743
	v_pk_mul_f32 v[4:5], v[68:69], v[68:69]                    // 00000000B484: D3B14004 18028944
	v_pk_mul_f32 v[6:7], v[70:71], v[70:71]                    // 00000000B48C: D3B14006 18028D46
	v_pk_fma_f32 v[4:5], v[4:5], s[78:79], v[8:9]              // 00000000B494: D3B04004 1C209D04
	v_pk_fma_f32 v[6:7], v[6:7], s[78:79], v[8:9]              // 00000000B49C: D3B04006 1C209D06
	v_pk_mul_f32 v[4:5], v[4:5], v[68:69]                      // 00000000B4A4: D3B14004 18028904
	v_pk_mul_f32 v[6:7], v[6:7], v[70:71]                      // 00000000B4AC: D3B14006 18028D06
	v_pk_mul_f32 v[4:5], v[4:5], s[60:61]                      // 00000000B4B4: D3B14004 18007904
	v_pk_mul_f32 v[6:7], v[6:7], s[60:61]                      // 00000000B4BC: D3B14006 18007906
	v_exp_f32_e32 v4, v4                                       // 00000000B4C4: 7E084104
	v_exp_f32_e32 v5, v5                                       // 00000000B4C8: 7E0A4105
	v_exp_f32_e32 v6, v6                                       // 00000000B4CC: 7E0C4106
	v_exp_f32_e32 v7, v7                                       // 00000000B4D0: 7E0E4107
	v_add_f32_e64 v4, v4, 1.0                                  // 00000000B4D4: D1010004 0001E504
	v_add_f32_e64 v5, v5, 1.0                                  // 00000000B4DC: D1010005 0001E505
	v_add_f32_e64 v6, v6, 1.0                                  // 00000000B4E4: D1010006 0001E506
	v_add_f32_e64 v7, v7, 1.0                                  // 00000000B4EC: D1010007 0001E507
	v_rcp_f32_e32 v4, v4                                       // 00000000B4F4: 7E084504
	v_rcp_f32_e32 v5, v5                                       // 00000000B4F8: 7E0A4505
	v_rcp_f32_e32 v6, v6                                       // 00000000B4FC: 7E0C4506
	v_rcp_f32_e32 v7, v7                                       // 00000000B500: 7E0E4507
	v_mul_f32_e32 v68, v68, v4                                 // 00000000B504: 0A880944
	v_mul_f32_e32 v69, v69, v5                                 // 00000000B508: 0A8A0B45
	v_mul_f32_e32 v70, v70, v6                                 // 00000000B50C: 0A8C0D46
	v_mul_f32_e32 v71, v71, v7                                 // 00000000B510: 0A8E0F47
	v_mul_f32_e32 v68, v68, v164                               // 00000000B514: 0A894944
	v_mul_f32_e32 v69, v69, v165                               // 00000000B518: 0A8B4B45
	v_mul_f32_e32 v70, v70, v166                               // 00000000B51C: 0A8D4D46
	v_mul_f32_e32 v71, v71, v167                               // 00000000B520: 0A8F4F47
	v_pk_mul_f32 v[4:5], v[72:73], v[72:73]                    // 00000000B524: D3B14004 18029148
	v_pk_mul_f32 v[6:7], v[74:75], v[74:75]                    // 00000000B52C: D3B14006 1802954A
	v_pk_fma_f32 v[4:5], v[4:5], s[78:79], v[8:9]              // 00000000B534: D3B04004 1C209D04
	v_pk_fma_f32 v[6:7], v[6:7], s[78:79], v[8:9]              // 00000000B53C: D3B04006 1C209D06
	v_pk_mul_f32 v[4:5], v[4:5], v[72:73]                      // 00000000B544: D3B14004 18029104
	v_pk_mul_f32 v[6:7], v[6:7], v[74:75]                      // 00000000B54C: D3B14006 18029506
	v_pk_mul_f32 v[4:5], v[4:5], s[60:61]                      // 00000000B554: D3B14004 18007904
	v_pk_mul_f32 v[6:7], v[6:7], s[60:61]                      // 00000000B55C: D3B14006 18007906
	v_exp_f32_e32 v4, v4                                       // 00000000B564: 7E084104
	v_exp_f32_e32 v5, v5                                       // 00000000B568: 7E0A4105
	v_exp_f32_e32 v6, v6                                       // 00000000B56C: 7E0C4106
	v_exp_f32_e32 v7, v7                                       // 00000000B570: 7E0E4107
	v_add_f32_e64 v4, v4, 1.0                                  // 00000000B574: D1010004 0001E504
	v_add_f32_e64 v5, v5, 1.0                                  // 00000000B57C: D1010005 0001E505
	v_add_f32_e64 v6, v6, 1.0                                  // 00000000B584: D1010006 0001E506
	v_add_f32_e64 v7, v7, 1.0                                  // 00000000B58C: D1010007 0001E507
	v_rcp_f32_e32 v4, v4                                       // 00000000B594: 7E084504
	v_rcp_f32_e32 v5, v5                                       // 00000000B598: 7E0A4505
	v_rcp_f32_e32 v6, v6                                       // 00000000B59C: 7E0C4506
	v_rcp_f32_e32 v7, v7                                       // 00000000B5A0: 7E0E4507
	v_mul_f32_e32 v72, v72, v4                                 // 00000000B5A4: 0A900948
	v_mul_f32_e32 v73, v73, v5                                 // 00000000B5A8: 0A920B49
	v_mul_f32_e32 v74, v74, v6                                 // 00000000B5AC: 0A940D4A
	v_mul_f32_e32 v75, v75, v7                                 // 00000000B5B0: 0A960F4B
	v_mul_f32_e32 v72, v72, v168                               // 00000000B5B4: 0A915148
	v_mul_f32_e32 v73, v73, v169                               // 00000000B5B8: 0A935349
	v_mul_f32_e32 v74, v74, v170                               // 00000000B5BC: 0A95554A
	v_mul_f32_e32 v75, v75, v171                               // 00000000B5C0: 0A97574B
	v_pk_mul_f32 v[4:5], v[76:77], v[76:77]                    // 00000000B5C4: D3B14004 1802994C
	v_pk_mul_f32 v[6:7], v[78:79], v[78:79]                    // 00000000B5CC: D3B14006 18029D4E
	v_pk_fma_f32 v[4:5], v[4:5], s[78:79], v[8:9]              // 00000000B5D4: D3B04004 1C209D04
	v_pk_fma_f32 v[6:7], v[6:7], s[78:79], v[8:9]              // 00000000B5DC: D3B04006 1C209D06
	v_pk_mul_f32 v[4:5], v[4:5], v[76:77]                      // 00000000B5E4: D3B14004 18029904
	v_pk_mul_f32 v[6:7], v[6:7], v[78:79]                      // 00000000B5EC: D3B14006 18029D06
	v_pk_mul_f32 v[4:5], v[4:5], s[60:61]                      // 00000000B5F4: D3B14004 18007904
	v_pk_mul_f32 v[6:7], v[6:7], s[60:61]                      // 00000000B5FC: D3B14006 18007906
	v_exp_f32_e32 v4, v4                                       // 00000000B604: 7E084104
	v_exp_f32_e32 v5, v5                                       // 00000000B608: 7E0A4105
	v_exp_f32_e32 v6, v6                                       // 00000000B60C: 7E0C4106
	v_exp_f32_e32 v7, v7                                       // 00000000B610: 7E0E4107
	v_add_f32_e64 v4, v4, 1.0                                  // 00000000B614: D1010004 0001E504
	v_add_f32_e64 v5, v5, 1.0                                  // 00000000B61C: D1010005 0001E505
	v_add_f32_e64 v6, v6, 1.0                                  // 00000000B624: D1010006 0001E506
	v_add_f32_e64 v7, v7, 1.0                                  // 00000000B62C: D1010007 0001E507
	v_rcp_f32_e32 v4, v4                                       // 00000000B634: 7E084504
	v_rcp_f32_e32 v5, v5                                       // 00000000B638: 7E0A4505
	v_rcp_f32_e32 v6, v6                                       // 00000000B63C: 7E0C4506
	v_rcp_f32_e32 v7, v7                                       // 00000000B640: 7E0E4507
	v_mul_f32_e32 v76, v76, v4                                 // 00000000B644: 0A98094C
	v_mul_f32_e32 v77, v77, v5                                 // 00000000B648: 0A9A0B4D
	v_mul_f32_e32 v78, v78, v6                                 // 00000000B64C: 0A9C0D4E
	v_mul_f32_e32 v79, v79, v7                                 // 00000000B650: 0A9E0F4F
	v_mul_f32_e32 v76, v76, v172                               // 00000000B654: 0A99594C
	v_mul_f32_e32 v77, v77, v173                               // 00000000B658: 0A9B5B4D
	v_mul_f32_e32 v78, v78, v174                               // 00000000B65C: 0A9D5D4E
	v_mul_f32_e32 v79, v79, v175                               // 00000000B660: 0A9F5F4F
	v_pk_mul_f32 v[4:5], v[80:81], v[80:81]                    // 00000000B664: D3B14004 1802A150
	v_pk_mul_f32 v[6:7], v[82:83], v[82:83]                    // 00000000B66C: D3B14006 1802A552
	v_pk_fma_f32 v[4:5], v[4:5], s[78:79], v[8:9]              // 00000000B674: D3B04004 1C209D04
	v_pk_fma_f32 v[6:7], v[6:7], s[78:79], v[8:9]              // 00000000B67C: D3B04006 1C209D06
	v_pk_mul_f32 v[4:5], v[4:5], v[80:81]                      // 00000000B684: D3B14004 1802A104
	v_pk_mul_f32 v[6:7], v[6:7], v[82:83]                      // 00000000B68C: D3B14006 1802A506
	v_pk_mul_f32 v[4:5], v[4:5], s[60:61]                      // 00000000B694: D3B14004 18007904
	v_pk_mul_f32 v[6:7], v[6:7], s[60:61]                      // 00000000B69C: D3B14006 18007906
	v_exp_f32_e32 v4, v4                                       // 00000000B6A4: 7E084104
	v_exp_f32_e32 v5, v5                                       // 00000000B6A8: 7E0A4105
	v_exp_f32_e32 v6, v6                                       // 00000000B6AC: 7E0C4106
	v_exp_f32_e32 v7, v7                                       // 00000000B6B0: 7E0E4107
	v_add_f32_e64 v4, v4, 1.0                                  // 00000000B6B4: D1010004 0001E504
	v_add_f32_e64 v5, v5, 1.0                                  // 00000000B6BC: D1010005 0001E505
	v_add_f32_e64 v6, v6, 1.0                                  // 00000000B6C4: D1010006 0001E506
	v_add_f32_e64 v7, v7, 1.0                                  // 00000000B6CC: D1010007 0001E507
	v_rcp_f32_e32 v4, v4                                       // 00000000B6D4: 7E084504
	v_rcp_f32_e32 v5, v5                                       // 00000000B6D8: 7E0A4505
	v_rcp_f32_e32 v6, v6                                       // 00000000B6DC: 7E0C4506
	v_rcp_f32_e32 v7, v7                                       // 00000000B6E0: 7E0E4507
	v_mul_f32_e32 v80, v80, v4                                 // 00000000B6E4: 0AA00950
	v_mul_f32_e32 v81, v81, v5                                 // 00000000B6E8: 0AA20B51
	v_mul_f32_e32 v82, v82, v6                                 // 00000000B6EC: 0AA40D52
	v_mul_f32_e32 v83, v83, v7                                 // 00000000B6F0: 0AA60F53
	v_mul_f32_e32 v80, v80, v176                               // 00000000B6F4: 0AA16150
	v_mul_f32_e32 v81, v81, v177                               // 00000000B6F8: 0AA36351
	v_mul_f32_e32 v82, v82, v178                               // 00000000B6FC: 0AA56552
	v_mul_f32_e32 v83, v83, v179                               // 00000000B700: 0AA76753
	v_pk_mul_f32 v[4:5], v[84:85], v[84:85]                    // 00000000B704: D3B14004 1802A954
	v_pk_mul_f32 v[6:7], v[86:87], v[86:87]                    // 00000000B70C: D3B14006 1802AD56
	v_pk_fma_f32 v[4:5], v[4:5], s[78:79], v[8:9]              // 00000000B714: D3B04004 1C209D04
	v_pk_fma_f32 v[6:7], v[6:7], s[78:79], v[8:9]              // 00000000B71C: D3B04006 1C209D06
	v_pk_mul_f32 v[4:5], v[4:5], v[84:85]                      // 00000000B724: D3B14004 1802A904
	v_pk_mul_f32 v[6:7], v[6:7], v[86:87]                      // 00000000B72C: D3B14006 1802AD06
	v_pk_mul_f32 v[4:5], v[4:5], s[60:61]                      // 00000000B734: D3B14004 18007904
	v_pk_mul_f32 v[6:7], v[6:7], s[60:61]                      // 00000000B73C: D3B14006 18007906
	v_exp_f32_e32 v4, v4                                       // 00000000B744: 7E084104
	v_exp_f32_e32 v5, v5                                       // 00000000B748: 7E0A4105
	v_exp_f32_e32 v6, v6                                       // 00000000B74C: 7E0C4106
	v_exp_f32_e32 v7, v7                                       // 00000000B750: 7E0E4107
	v_add_f32_e64 v4, v4, 1.0                                  // 00000000B754: D1010004 0001E504
	v_add_f32_e64 v5, v5, 1.0                                  // 00000000B75C: D1010005 0001E505
	v_add_f32_e64 v6, v6, 1.0                                  // 00000000B764: D1010006 0001E506
	v_add_f32_e64 v7, v7, 1.0                                  // 00000000B76C: D1010007 0001E507
	v_rcp_f32_e32 v4, v4                                       // 00000000B774: 7E084504
	v_rcp_f32_e32 v5, v5                                       // 00000000B778: 7E0A4505
	v_rcp_f32_e32 v6, v6                                       // 00000000B77C: 7E0C4506
	v_rcp_f32_e32 v7, v7                                       // 00000000B780: 7E0E4507
	v_mul_f32_e32 v84, v84, v4                                 // 00000000B784: 0AA80954
	v_mul_f32_e32 v85, v85, v5                                 // 00000000B788: 0AAA0B55
	v_mul_f32_e32 v86, v86, v6                                 // 00000000B78C: 0AAC0D56
	v_mul_f32_e32 v87, v87, v7                                 // 00000000B790: 0AAE0F57
	v_mul_f32_e32 v84, v84, v180                               // 00000000B794: 0AA96954
	v_mul_f32_e32 v85, v85, v181                               // 00000000B798: 0AAB6B55
	v_mul_f32_e32 v86, v86, v182                               // 00000000B79C: 0AAD6D56
	v_mul_f32_e32 v87, v87, v183                               // 00000000B7A0: 0AAF6F57
	v_pk_mul_f32 v[4:5], v[88:89], v[88:89]                    // 00000000B7A4: D3B14004 1802B158
	v_pk_mul_f32 v[6:7], v[90:91], v[90:91]                    // 00000000B7AC: D3B14006 1802B55A
	v_pk_fma_f32 v[4:5], v[4:5], s[78:79], v[8:9]              // 00000000B7B4: D3B04004 1C209D04
	v_pk_fma_f32 v[6:7], v[6:7], s[78:79], v[8:9]              // 00000000B7BC: D3B04006 1C209D06
	v_pk_mul_f32 v[4:5], v[4:5], v[88:89]                      // 00000000B7C4: D3B14004 1802B104
	v_pk_mul_f32 v[6:7], v[6:7], v[90:91]                      // 00000000B7CC: D3B14006 1802B506
	v_pk_mul_f32 v[4:5], v[4:5], s[60:61]                      // 00000000B7D4: D3B14004 18007904
	v_pk_mul_f32 v[6:7], v[6:7], s[60:61]                      // 00000000B7DC: D3B14006 18007906
	v_exp_f32_e32 v4, v4                                       // 00000000B7E4: 7E084104
	v_exp_f32_e32 v5, v5                                       // 00000000B7E8: 7E0A4105
	v_exp_f32_e32 v6, v6                                       // 00000000B7EC: 7E0C4106
	v_exp_f32_e32 v7, v7                                       // 00000000B7F0: 7E0E4107
	v_add_f32_e64 v4, v4, 1.0                                  // 00000000B7F4: D1010004 0001E504
	v_add_f32_e64 v5, v5, 1.0                                  // 00000000B7FC: D1010005 0001E505
	v_add_f32_e64 v6, v6, 1.0                                  // 00000000B804: D1010006 0001E506
	v_add_f32_e64 v7, v7, 1.0                                  // 00000000B80C: D1010007 0001E507
	v_rcp_f32_e32 v4, v4                                       // 00000000B814: 7E084504
	v_rcp_f32_e32 v5, v5                                       // 00000000B818: 7E0A4505
	v_rcp_f32_e32 v6, v6                                       // 00000000B81C: 7E0C4506
	v_rcp_f32_e32 v7, v7                                       // 00000000B820: 7E0E4507
	v_mul_f32_e32 v88, v88, v4                                 // 00000000B824: 0AB00958
	v_mul_f32_e32 v89, v89, v5                                 // 00000000B828: 0AB20B59
	v_mul_f32_e32 v90, v90, v6                                 // 00000000B82C: 0AB40D5A
	v_mul_f32_e32 v91, v91, v7                                 // 00000000B830: 0AB60F5B
	v_mul_f32_e32 v88, v88, v184                               // 00000000B834: 0AB17158
	v_mul_f32_e32 v89, v89, v185                               // 00000000B838: 0AB37359
	v_mul_f32_e32 v90, v90, v186                               // 00000000B83C: 0AB5755A
	v_mul_f32_e32 v91, v91, v187                               // 00000000B840: 0AB7775B
	v_pk_mul_f32 v[4:5], v[92:93], v[92:93]                    // 00000000B844: D3B14004 1802B95C
	v_pk_mul_f32 v[6:7], v[94:95], v[94:95]                    // 00000000B84C: D3B14006 1802BD5E
	v_pk_fma_f32 v[4:5], v[4:5], s[78:79], v[8:9]              // 00000000B854: D3B04004 1C209D04
	v_pk_fma_f32 v[6:7], v[6:7], s[78:79], v[8:9]              // 00000000B85C: D3B04006 1C209D06
	v_pk_mul_f32 v[4:5], v[4:5], v[92:93]                      // 00000000B864: D3B14004 1802B904
	v_pk_mul_f32 v[6:7], v[6:7], v[94:95]                      // 00000000B86C: D3B14006 1802BD06
	v_pk_mul_f32 v[4:5], v[4:5], s[60:61]                      // 00000000B874: D3B14004 18007904
	v_pk_mul_f32 v[6:7], v[6:7], s[60:61]                      // 00000000B87C: D3B14006 18007906
	v_exp_f32_e32 v4, v4                                       // 00000000B884: 7E084104
	v_exp_f32_e32 v5, v5                                       // 00000000B888: 7E0A4105
	v_exp_f32_e32 v6, v6                                       // 00000000B88C: 7E0C4106
	v_exp_f32_e32 v7, v7                                       // 00000000B890: 7E0E4107
	v_add_f32_e64 v4, v4, 1.0                                  // 00000000B894: D1010004 0001E504
	v_add_f32_e64 v5, v5, 1.0                                  // 00000000B89C: D1010005 0001E505
	v_add_f32_e64 v6, v6, 1.0                                  // 00000000B8A4: D1010006 0001E506
	v_add_f32_e64 v7, v7, 1.0                                  // 00000000B8AC: D1010007 0001E507
	v_rcp_f32_e32 v4, v4                                       // 00000000B8B4: 7E084504
	v_rcp_f32_e32 v5, v5                                       // 00000000B8B8: 7E0A4505
	v_rcp_f32_e32 v6, v6                                       // 00000000B8BC: 7E0C4506
	v_rcp_f32_e32 v7, v7                                       // 00000000B8C0: 7E0E4507
	v_mul_f32_e32 v92, v92, v4                                 // 00000000B8C4: 0AB8095C
	v_mul_f32_e32 v93, v93, v5                                 // 00000000B8C8: 0ABA0B5D
	v_mul_f32_e32 v94, v94, v6                                 // 00000000B8CC: 0ABC0D5E
	v_mul_f32_e32 v95, v95, v7                                 // 00000000B8D0: 0ABE0F5F
	v_mul_f32_e32 v92, v92, v188                               // 00000000B8D4: 0AB9795C
	v_mul_f32_e32 v93, v93, v189                               // 00000000B8D8: 0ABB7B5D
	v_mul_f32_e32 v94, v94, v190                               // 00000000B8DC: 0ABD7D5E
	v_mul_f32_e32 v95, v95, v191                               // 00000000B8E0: 0ABF7F5F
	v_pk_mul_f32 v[4:5], v[96:97], v[96:97]                    // 00000000B8E4: D3B14004 1802C160
	v_pk_mul_f32 v[6:7], v[98:99], v[98:99]                    // 00000000B8EC: D3B14006 1802C562
	v_pk_fma_f32 v[4:5], v[4:5], s[78:79], v[8:9]              // 00000000B8F4: D3B04004 1C209D04
	v_pk_fma_f32 v[6:7], v[6:7], s[78:79], v[8:9]              // 00000000B8FC: D3B04006 1C209D06
	v_pk_mul_f32 v[4:5], v[4:5], v[96:97]                      // 00000000B904: D3B14004 1802C104
	v_pk_mul_f32 v[6:7], v[6:7], v[98:99]                      // 00000000B90C: D3B14006 1802C506
	v_pk_mul_f32 v[4:5], v[4:5], s[60:61]                      // 00000000B914: D3B14004 18007904
	v_pk_mul_f32 v[6:7], v[6:7], s[60:61]                      // 00000000B91C: D3B14006 18007906
	v_exp_f32_e32 v4, v4                                       // 00000000B924: 7E084104
	v_exp_f32_e32 v5, v5                                       // 00000000B928: 7E0A4105
	v_exp_f32_e32 v6, v6                                       // 00000000B92C: 7E0C4106
	v_exp_f32_e32 v7, v7                                       // 00000000B930: 7E0E4107
	v_add_f32_e64 v4, v4, 1.0                                  // 00000000B934: D1010004 0001E504
	v_add_f32_e64 v5, v5, 1.0                                  // 00000000B93C: D1010005 0001E505
	v_add_f32_e64 v6, v6, 1.0                                  // 00000000B944: D1010006 0001E506
	v_add_f32_e64 v7, v7, 1.0                                  // 00000000B94C: D1010007 0001E507
	v_rcp_f32_e32 v4, v4                                       // 00000000B954: 7E084504
	v_rcp_f32_e32 v5, v5                                       // 00000000B958: 7E0A4505
	v_rcp_f32_e32 v6, v6                                       // 00000000B95C: 7E0C4506
	v_rcp_f32_e32 v7, v7                                       // 00000000B960: 7E0E4507
	v_mul_f32_e32 v96, v96, v4                                 // 00000000B964: 0AC00960
	v_mul_f32_e32 v97, v97, v5                                 // 00000000B968: 0AC20B61
	v_mul_f32_e32 v98, v98, v6                                 // 00000000B96C: 0AC40D62
	v_mul_f32_e32 v99, v99, v7                                 // 00000000B970: 0AC60F63
	v_mul_f32_e32 v96, v96, v192                               // 00000000B974: 0AC18160
	v_mul_f32_e32 v97, v97, v193                               // 00000000B978: 0AC38361
	v_mul_f32_e32 v98, v98, v194                               // 00000000B97C: 0AC58562
	v_mul_f32_e32 v99, v99, v195                               // 00000000B980: 0AC78763
	v_pk_mul_f32 v[4:5], v[100:101], v[100:101]                // 00000000B984: D3B14004 1802C964
	v_pk_mul_f32 v[6:7], v[102:103], v[102:103]                // 00000000B98C: D3B14006 1802CD66
	v_pk_fma_f32 v[4:5], v[4:5], s[78:79], v[8:9]              // 00000000B994: D3B04004 1C209D04
	v_pk_fma_f32 v[6:7], v[6:7], s[78:79], v[8:9]              // 00000000B99C: D3B04006 1C209D06
	v_pk_mul_f32 v[4:5], v[4:5], v[100:101]                    // 00000000B9A4: D3B14004 1802C904
	v_pk_mul_f32 v[6:7], v[6:7], v[102:103]                    // 00000000B9AC: D3B14006 1802CD06
	v_pk_mul_f32 v[4:5], v[4:5], s[60:61]                      // 00000000B9B4: D3B14004 18007904
	v_pk_mul_f32 v[6:7], v[6:7], s[60:61]                      // 00000000B9BC: D3B14006 18007906
	v_exp_f32_e32 v4, v4                                       // 00000000B9C4: 7E084104
	v_exp_f32_e32 v5, v5                                       // 00000000B9C8: 7E0A4105
	v_exp_f32_e32 v6, v6                                       // 00000000B9CC: 7E0C4106
	v_exp_f32_e32 v7, v7                                       // 00000000B9D0: 7E0E4107
	v_add_f32_e64 v4, v4, 1.0                                  // 00000000B9D4: D1010004 0001E504
	v_add_f32_e64 v5, v5, 1.0                                  // 00000000B9DC: D1010005 0001E505
	v_add_f32_e64 v6, v6, 1.0                                  // 00000000B9E4: D1010006 0001E506
	v_add_f32_e64 v7, v7, 1.0                                  // 00000000B9EC: D1010007 0001E507
	v_rcp_f32_e32 v4, v4                                       // 00000000B9F4: 7E084504
	v_rcp_f32_e32 v5, v5                                       // 00000000B9F8: 7E0A4505
	v_rcp_f32_e32 v6, v6                                       // 00000000B9FC: 7E0C4506
	v_rcp_f32_e32 v7, v7                                       // 00000000BA00: 7E0E4507
	v_mul_f32_e32 v100, v100, v4                               // 00000000BA04: 0AC80964
	v_mul_f32_e32 v101, v101, v5                               // 00000000BA08: 0ACA0B65
	v_mul_f32_e32 v102, v102, v6                               // 00000000BA0C: 0ACC0D66
	v_mul_f32_e32 v103, v103, v7                               // 00000000BA10: 0ACE0F67
	v_mul_f32_e32 v100, v100, v196                             // 00000000BA14: 0AC98964
	v_mul_f32_e32 v101, v101, v197                             // 00000000BA18: 0ACB8B65
	v_mul_f32_e32 v102, v102, v198                             // 00000000BA1C: 0ACD8D66
	v_mul_f32_e32 v103, v103, v199                             // 00000000BA20: 0ACF8F67
	v_pk_mul_f32 v[4:5], v[104:105], v[104:105]                // 00000000BA24: D3B14004 1802D168
	v_pk_mul_f32 v[6:7], v[106:107], v[106:107]                // 00000000BA2C: D3B14006 1802D56A
	v_pk_fma_f32 v[4:5], v[4:5], s[78:79], v[8:9]              // 00000000BA34: D3B04004 1C209D04
	v_pk_fma_f32 v[6:7], v[6:7], s[78:79], v[8:9]              // 00000000BA3C: D3B04006 1C209D06
	v_pk_mul_f32 v[4:5], v[4:5], v[104:105]                    // 00000000BA44: D3B14004 1802D104
	v_pk_mul_f32 v[6:7], v[6:7], v[106:107]                    // 00000000BA4C: D3B14006 1802D506
	v_pk_mul_f32 v[4:5], v[4:5], s[60:61]                      // 00000000BA54: D3B14004 18007904
	v_pk_mul_f32 v[6:7], v[6:7], s[60:61]                      // 00000000BA5C: D3B14006 18007906
	v_exp_f32_e32 v4, v4                                       // 00000000BA64: 7E084104
	v_exp_f32_e32 v5, v5                                       // 00000000BA68: 7E0A4105
	v_exp_f32_e32 v6, v6                                       // 00000000BA6C: 7E0C4106
	v_exp_f32_e32 v7, v7                                       // 00000000BA70: 7E0E4107
	v_add_f32_e64 v4, v4, 1.0                                  // 00000000BA74: D1010004 0001E504
	v_add_f32_e64 v5, v5, 1.0                                  // 00000000BA7C: D1010005 0001E505
	v_add_f32_e64 v6, v6, 1.0                                  // 00000000BA84: D1010006 0001E506
	v_add_f32_e64 v7, v7, 1.0                                  // 00000000BA8C: D1010007 0001E507
	v_rcp_f32_e32 v4, v4                                       // 00000000BA94: 7E084504
	v_rcp_f32_e32 v5, v5                                       // 00000000BA98: 7E0A4505
	v_rcp_f32_e32 v6, v6                                       // 00000000BA9C: 7E0C4506
	v_rcp_f32_e32 v7, v7                                       // 00000000BAA0: 7E0E4507
	v_mul_f32_e32 v104, v104, v4                               // 00000000BAA4: 0AD00968
	v_mul_f32_e32 v105, v105, v5                               // 00000000BAA8: 0AD20B69
	v_mul_f32_e32 v106, v106, v6                               // 00000000BAAC: 0AD40D6A
	v_mul_f32_e32 v107, v107, v7                               // 00000000BAB0: 0AD60F6B
	v_mul_f32_e32 v104, v104, v200                             // 00000000BAB4: 0AD19168
	v_mul_f32_e32 v105, v105, v201                             // 00000000BAB8: 0AD39369
	v_mul_f32_e32 v106, v106, v202                             // 00000000BABC: 0AD5956A
	v_mul_f32_e32 v107, v107, v203                             // 00000000BAC0: 0AD7976B
	v_pk_mul_f32 v[4:5], v[108:109], v[108:109]                // 00000000BAC4: D3B14004 1802D96C
	v_pk_mul_f32 v[6:7], v[110:111], v[110:111]                // 00000000BACC: D3B14006 1802DD6E
	v_pk_fma_f32 v[4:5], v[4:5], s[78:79], v[8:9]              // 00000000BAD4: D3B04004 1C209D04
	v_pk_fma_f32 v[6:7], v[6:7], s[78:79], v[8:9]              // 00000000BADC: D3B04006 1C209D06
	v_pk_mul_f32 v[4:5], v[4:5], v[108:109]                    // 00000000BAE4: D3B14004 1802D904
	v_pk_mul_f32 v[6:7], v[6:7], v[110:111]                    // 00000000BAEC: D3B14006 1802DD06
	v_pk_mul_f32 v[4:5], v[4:5], s[60:61]                      // 00000000BAF4: D3B14004 18007904
	v_pk_mul_f32 v[6:7], v[6:7], s[60:61]                      // 00000000BAFC: D3B14006 18007906
	v_exp_f32_e32 v4, v4                                       // 00000000BB04: 7E084104
	v_exp_f32_e32 v5, v5                                       // 00000000BB08: 7E0A4105
	v_exp_f32_e32 v6, v6                                       // 00000000BB0C: 7E0C4106
	v_exp_f32_e32 v7, v7                                       // 00000000BB10: 7E0E4107
	v_add_f32_e64 v4, v4, 1.0                                  // 00000000BB14: D1010004 0001E504
	v_add_f32_e64 v5, v5, 1.0                                  // 00000000BB1C: D1010005 0001E505
	v_add_f32_e64 v6, v6, 1.0                                  // 00000000BB24: D1010006 0001E506
	v_add_f32_e64 v7, v7, 1.0                                  // 00000000BB2C: D1010007 0001E507
	v_rcp_f32_e32 v4, v4                                       // 00000000BB34: 7E084504
	v_rcp_f32_e32 v5, v5                                       // 00000000BB38: 7E0A4505
	v_rcp_f32_e32 v6, v6                                       // 00000000BB3C: 7E0C4506
	v_rcp_f32_e32 v7, v7                                       // 00000000BB40: 7E0E4507
	v_mul_f32_e32 v108, v108, v4                               // 00000000BB44: 0AD8096C
	v_mul_f32_e32 v109, v109, v5                               // 00000000BB48: 0ADA0B6D
	v_mul_f32_e32 v110, v110, v6                               // 00000000BB4C: 0ADC0D6E
	v_mul_f32_e32 v111, v111, v7                               // 00000000BB50: 0ADE0F6F
	v_mul_f32_e32 v108, v108, v204                             // 00000000BB54: 0AD9996C
	v_mul_f32_e32 v109, v109, v205                             // 00000000BB58: 0ADB9B6D
	v_mul_f32_e32 v110, v110, v206                             // 00000000BB5C: 0ADD9D6E
	v_mul_f32_e32 v111, v111, v207                             // 00000000BB60: 0ADF9F6F
	v_pk_mul_f32 v[4:5], v[112:113], v[112:113]                // 00000000BB64: D3B14004 1802E170
	v_pk_mul_f32 v[6:7], v[114:115], v[114:115]                // 00000000BB6C: D3B14006 1802E572
	v_pk_fma_f32 v[4:5], v[4:5], s[78:79], v[8:9]              // 00000000BB74: D3B04004 1C209D04
	v_pk_fma_f32 v[6:7], v[6:7], s[78:79], v[8:9]              // 00000000BB7C: D3B04006 1C209D06
	v_pk_mul_f32 v[4:5], v[4:5], v[112:113]                    // 00000000BB84: D3B14004 1802E104
	v_pk_mul_f32 v[6:7], v[6:7], v[114:115]                    // 00000000BB8C: D3B14006 1802E506
	v_pk_mul_f32 v[4:5], v[4:5], s[60:61]                      // 00000000BB94: D3B14004 18007904
	v_pk_mul_f32 v[6:7], v[6:7], s[60:61]                      // 00000000BB9C: D3B14006 18007906
	v_exp_f32_e32 v4, v4                                       // 00000000BBA4: 7E084104
	v_exp_f32_e32 v5, v5                                       // 00000000BBA8: 7E0A4105
	v_exp_f32_e32 v6, v6                                       // 00000000BBAC: 7E0C4106
	v_exp_f32_e32 v7, v7                                       // 00000000BBB0: 7E0E4107
	v_add_f32_e64 v4, v4, 1.0                                  // 00000000BBB4: D1010004 0001E504
	v_add_f32_e64 v5, v5, 1.0                                  // 00000000BBBC: D1010005 0001E505
	v_add_f32_e64 v6, v6, 1.0                                  // 00000000BBC4: D1010006 0001E506
	v_add_f32_e64 v7, v7, 1.0                                  // 00000000BBCC: D1010007 0001E507
	v_rcp_f32_e32 v4, v4                                       // 00000000BBD4: 7E084504
	v_rcp_f32_e32 v5, v5                                       // 00000000BBD8: 7E0A4505
	v_rcp_f32_e32 v6, v6                                       // 00000000BBDC: 7E0C4506
	v_rcp_f32_e32 v7, v7                                       // 00000000BBE0: 7E0E4507
	v_mul_f32_e32 v112, v112, v4                               // 00000000BBE4: 0AE00970
	v_mul_f32_e32 v113, v113, v5                               // 00000000BBE8: 0AE20B71
	v_mul_f32_e32 v114, v114, v6                               // 00000000BBEC: 0AE40D72
	v_mul_f32_e32 v115, v115, v7                               // 00000000BBF0: 0AE60F73
	v_mul_f32_e32 v112, v112, v208                             // 00000000BBF4: 0AE1A170
	v_mul_f32_e32 v113, v113, v209                             // 00000000BBF8: 0AE3A371
	v_mul_f32_e32 v114, v114, v210                             // 00000000BBFC: 0AE5A572
	v_mul_f32_e32 v115, v115, v211                             // 00000000BC00: 0AE7A773
	v_pk_mul_f32 v[4:5], v[116:117], v[116:117]                // 00000000BC04: D3B14004 1802E974
	v_pk_mul_f32 v[6:7], v[118:119], v[118:119]                // 00000000BC0C: D3B14006 1802ED76
	v_pk_fma_f32 v[4:5], v[4:5], s[78:79], v[8:9]              // 00000000BC14: D3B04004 1C209D04
	v_pk_fma_f32 v[6:7], v[6:7], s[78:79], v[8:9]              // 00000000BC1C: D3B04006 1C209D06
	v_pk_mul_f32 v[4:5], v[4:5], v[116:117]                    // 00000000BC24: D3B14004 1802E904
	v_pk_mul_f32 v[6:7], v[6:7], v[118:119]                    // 00000000BC2C: D3B14006 1802ED06
	v_pk_mul_f32 v[4:5], v[4:5], s[60:61]                      // 00000000BC34: D3B14004 18007904
	v_pk_mul_f32 v[6:7], v[6:7], s[60:61]                      // 00000000BC3C: D3B14006 18007906
	v_exp_f32_e32 v4, v4                                       // 00000000BC44: 7E084104
	v_exp_f32_e32 v5, v5                                       // 00000000BC48: 7E0A4105
	v_exp_f32_e32 v6, v6                                       // 00000000BC4C: 7E0C4106
	v_exp_f32_e32 v7, v7                                       // 00000000BC50: 7E0E4107
	v_add_f32_e64 v4, v4, 1.0                                  // 00000000BC54: D1010004 0001E504
	v_add_f32_e64 v5, v5, 1.0                                  // 00000000BC5C: D1010005 0001E505
	v_add_f32_e64 v6, v6, 1.0                                  // 00000000BC64: D1010006 0001E506
	v_add_f32_e64 v7, v7, 1.0                                  // 00000000BC6C: D1010007 0001E507
	v_rcp_f32_e32 v4, v4                                       // 00000000BC74: 7E084504
	v_rcp_f32_e32 v5, v5                                       // 00000000BC78: 7E0A4505
	v_rcp_f32_e32 v6, v6                                       // 00000000BC7C: 7E0C4506
	v_rcp_f32_e32 v7, v7                                       // 00000000BC80: 7E0E4507
	v_mul_f32_e32 v116, v116, v4                               // 00000000BC84: 0AE80974
	v_mul_f32_e32 v117, v117, v5                               // 00000000BC88: 0AEA0B75
	v_mul_f32_e32 v118, v118, v6                               // 00000000BC8C: 0AEC0D76
	v_mul_f32_e32 v119, v119, v7                               // 00000000BC90: 0AEE0F77
	v_mul_f32_e32 v116, v116, v212                             // 00000000BC94: 0AE9A974
	v_mul_f32_e32 v117, v117, v213                             // 00000000BC98: 0AEBAB75
	v_mul_f32_e32 v118, v118, v214                             // 00000000BC9C: 0AEDAD76
	v_mul_f32_e32 v119, v119, v215                             // 00000000BCA0: 0AEFAF77
	v_pk_mul_f32 v[4:5], v[120:121], v[120:121]                // 00000000BCA4: D3B14004 1802F178
	v_pk_mul_f32 v[6:7], v[122:123], v[122:123]                // 00000000BCAC: D3B14006 1802F57A
	v_pk_fma_f32 v[4:5], v[4:5], s[78:79], v[8:9]              // 00000000BCB4: D3B04004 1C209D04
	v_pk_fma_f32 v[6:7], v[6:7], s[78:79], v[8:9]              // 00000000BCBC: D3B04006 1C209D06
	v_pk_mul_f32 v[4:5], v[4:5], v[120:121]                    // 00000000BCC4: D3B14004 1802F104
	v_pk_mul_f32 v[6:7], v[6:7], v[122:123]                    // 00000000BCCC: D3B14006 1802F506
	v_pk_mul_f32 v[4:5], v[4:5], s[60:61]                      // 00000000BCD4: D3B14004 18007904
	v_pk_mul_f32 v[6:7], v[6:7], s[60:61]                      // 00000000BCDC: D3B14006 18007906
	v_exp_f32_e32 v4, v4                                       // 00000000BCE4: 7E084104
	v_exp_f32_e32 v5, v5                                       // 00000000BCE8: 7E0A4105
	v_exp_f32_e32 v6, v6                                       // 00000000BCEC: 7E0C4106
	v_exp_f32_e32 v7, v7                                       // 00000000BCF0: 7E0E4107
	v_add_f32_e64 v4, v4, 1.0                                  // 00000000BCF4: D1010004 0001E504
	v_add_f32_e64 v5, v5, 1.0                                  // 00000000BCFC: D1010005 0001E505
	v_add_f32_e64 v6, v6, 1.0                                  // 00000000BD04: D1010006 0001E506
	v_add_f32_e64 v7, v7, 1.0                                  // 00000000BD0C: D1010007 0001E507
	v_rcp_f32_e32 v4, v4                                       // 00000000BD14: 7E084504
	v_rcp_f32_e32 v5, v5                                       // 00000000BD18: 7E0A4505
	v_rcp_f32_e32 v6, v6                                       // 00000000BD1C: 7E0C4506
	v_rcp_f32_e32 v7, v7                                       // 00000000BD20: 7E0E4507
	v_mul_f32_e32 v120, v120, v4                               // 00000000BD24: 0AF00978
	v_mul_f32_e32 v121, v121, v5                               // 00000000BD28: 0AF20B79
	v_mul_f32_e32 v122, v122, v6                               // 00000000BD2C: 0AF40D7A
	v_mul_f32_e32 v123, v123, v7                               // 00000000BD30: 0AF60F7B
	v_mul_f32_e32 v120, v120, v216                             // 00000000BD34: 0AF1B178
	v_mul_f32_e32 v121, v121, v217                             // 00000000BD38: 0AF3B379
	v_mul_f32_e32 v122, v122, v218                             // 00000000BD3C: 0AF5B57A
	v_mul_f32_e32 v123, v123, v219                             // 00000000BD40: 0AF7B77B
	v_pk_mul_f32 v[4:5], v[124:125], v[124:125]                // 00000000BD44: D3B14004 1802F97C
	v_pk_mul_f32 v[6:7], v[126:127], v[126:127]                // 00000000BD4C: D3B14006 1802FD7E
	v_pk_fma_f32 v[4:5], v[4:5], s[78:79], v[8:9]              // 00000000BD54: D3B04004 1C209D04
	v_pk_fma_f32 v[6:7], v[6:7], s[78:79], v[8:9]              // 00000000BD5C: D3B04006 1C209D06
	v_pk_mul_f32 v[4:5], v[4:5], v[124:125]                    // 00000000BD64: D3B14004 1802F904
	v_pk_mul_f32 v[6:7], v[6:7], v[126:127]                    // 00000000BD6C: D3B14006 1802FD06
	v_pk_mul_f32 v[4:5], v[4:5], s[60:61]                      // 00000000BD74: D3B14004 18007904
	v_pk_mul_f32 v[6:7], v[6:7], s[60:61]                      // 00000000BD7C: D3B14006 18007906
	v_exp_f32_e32 v4, v4                                       // 00000000BD84: 7E084104
	v_exp_f32_e32 v5, v5                                       // 00000000BD88: 7E0A4105
	v_exp_f32_e32 v6, v6                                       // 00000000BD8C: 7E0C4106
	v_exp_f32_e32 v7, v7                                       // 00000000BD90: 7E0E4107
	v_add_f32_e64 v4, v4, 1.0                                  // 00000000BD94: D1010004 0001E504
	v_add_f32_e64 v5, v5, 1.0                                  // 00000000BD9C: D1010005 0001E505
	v_add_f32_e64 v6, v6, 1.0                                  // 00000000BDA4: D1010006 0001E506
	v_add_f32_e64 v7, v7, 1.0                                  // 00000000BDAC: D1010007 0001E507
	v_rcp_f32_e32 v4, v4                                       // 00000000BDB4: 7E084504
	v_rcp_f32_e32 v5, v5                                       // 00000000BDB8: 7E0A4505
	v_rcp_f32_e32 v6, v6                                       // 00000000BDBC: 7E0C4506
	v_rcp_f32_e32 v7, v7                                       // 00000000BDC0: 7E0E4507
	v_mul_f32_e32 v124, v124, v4                               // 00000000BDC4: 0AF8097C
	v_mul_f32_e32 v125, v125, v5                               // 00000000BDC8: 0AFA0B7D
	v_mul_f32_e32 v126, v126, v6                               // 00000000BDCC: 0AFC0D7E
	v_mul_f32_e32 v127, v127, v7                               // 00000000BDD0: 0AFE0F7F
	v_mul_f32_e32 v124, v124, v220                             // 00000000BDD4: 0AF9B97C
	v_mul_f32_e32 v125, v125, v221                             // 00000000BDD8: 0AFBBB7D
	v_mul_f32_e32 v126, v126, v222                             // 00000000BDDC: 0AFDBD7E
	v_mul_f32_e32 v127, v127, v223                             // 00000000BDE0: 0AFFBF7F
	v_pk_mul_f32 v[4:5], v[128:129], v[128:129]                // 00000000BDE4: D3B14004 18030180
	v_pk_mul_f32 v[6:7], v[130:131], v[130:131]                // 00000000BDEC: D3B14006 18030582
	v_pk_fma_f32 v[4:5], v[4:5], s[78:79], v[8:9]              // 00000000BDF4: D3B04004 1C209D04
	v_pk_fma_f32 v[6:7], v[6:7], s[78:79], v[8:9]              // 00000000BDFC: D3B04006 1C209D06
	v_pk_mul_f32 v[4:5], v[4:5], v[128:129]                    // 00000000BE04: D3B14004 18030104
	v_pk_mul_f32 v[6:7], v[6:7], v[130:131]                    // 00000000BE0C: D3B14006 18030506
	v_pk_mul_f32 v[4:5], v[4:5], s[60:61]                      // 00000000BE14: D3B14004 18007904
	v_pk_mul_f32 v[6:7], v[6:7], s[60:61]                      // 00000000BE1C: D3B14006 18007906
	v_exp_f32_e32 v4, v4                                       // 00000000BE24: 7E084104
	v_exp_f32_e32 v5, v5                                       // 00000000BE28: 7E0A4105
	v_exp_f32_e32 v6, v6                                       // 00000000BE2C: 7E0C4106
	v_exp_f32_e32 v7, v7                                       // 00000000BE30: 7E0E4107
	v_add_f32_e64 v4, v4, 1.0                                  // 00000000BE34: D1010004 0001E504
	v_add_f32_e64 v5, v5, 1.0                                  // 00000000BE3C: D1010005 0001E505
	v_add_f32_e64 v6, v6, 1.0                                  // 00000000BE44: D1010006 0001E506
	v_add_f32_e64 v7, v7, 1.0                                  // 00000000BE4C: D1010007 0001E507
	v_rcp_f32_e32 v4, v4                                       // 00000000BE54: 7E084504
	v_rcp_f32_e32 v5, v5                                       // 00000000BE58: 7E0A4505
	v_rcp_f32_e32 v6, v6                                       // 00000000BE5C: 7E0C4506
	v_rcp_f32_e32 v7, v7                                       // 00000000BE60: 7E0E4507
	v_mul_f32_e32 v128, v128, v4                               // 00000000BE64: 0B000980
	v_mul_f32_e32 v129, v129, v5                               // 00000000BE68: 0B020B81
	v_mul_f32_e32 v130, v130, v6                               // 00000000BE6C: 0B040D82
	v_mul_f32_e32 v131, v131, v7                               // 00000000BE70: 0B060F83
	v_mul_f32_e32 v128, v128, v224                             // 00000000BE74: 0B01C180
	v_mul_f32_e32 v129, v129, v225                             // 00000000BE78: 0B03C381
	v_mul_f32_e32 v130, v130, v226                             // 00000000BE7C: 0B05C582
	v_mul_f32_e32 v131, v131, v227                             // 00000000BE80: 0B07C783
	v_pk_mul_f32 v[4:5], v[132:133], v[132:133]                // 00000000BE84: D3B14004 18030984
	v_pk_mul_f32 v[6:7], v[134:135], v[134:135]                // 00000000BE8C: D3B14006 18030D86
	v_pk_fma_f32 v[4:5], v[4:5], s[78:79], v[8:9]              // 00000000BE94: D3B04004 1C209D04
	v_pk_fma_f32 v[6:7], v[6:7], s[78:79], v[8:9]              // 00000000BE9C: D3B04006 1C209D06
	v_pk_mul_f32 v[4:5], v[4:5], v[132:133]                    // 00000000BEA4: D3B14004 18030904
	v_pk_mul_f32 v[6:7], v[6:7], v[134:135]                    // 00000000BEAC: D3B14006 18030D06
	v_pk_mul_f32 v[4:5], v[4:5], s[60:61]                      // 00000000BEB4: D3B14004 18007904
	v_pk_mul_f32 v[6:7], v[6:7], s[60:61]                      // 00000000BEBC: D3B14006 18007906
	v_exp_f32_e32 v4, v4                                       // 00000000BEC4: 7E084104
	v_exp_f32_e32 v5, v5                                       // 00000000BEC8: 7E0A4105
	v_exp_f32_e32 v6, v6                                       // 00000000BECC: 7E0C4106
	v_exp_f32_e32 v7, v7                                       // 00000000BED0: 7E0E4107
	v_add_f32_e64 v4, v4, 1.0                                  // 00000000BED4: D1010004 0001E504
	v_add_f32_e64 v5, v5, 1.0                                  // 00000000BEDC: D1010005 0001E505
	v_add_f32_e64 v6, v6, 1.0                                  // 00000000BEE4: D1010006 0001E506
	v_add_f32_e64 v7, v7, 1.0                                  // 00000000BEEC: D1010007 0001E507
	v_rcp_f32_e32 v4, v4                                       // 00000000BEF4: 7E084504
	v_rcp_f32_e32 v5, v5                                       // 00000000BEF8: 7E0A4505
	v_rcp_f32_e32 v6, v6                                       // 00000000BEFC: 7E0C4506
	v_rcp_f32_e32 v7, v7                                       // 00000000BF00: 7E0E4507
	v_mul_f32_e32 v132, v132, v4                               // 00000000BF04: 0B080984
	v_mul_f32_e32 v133, v133, v5                               // 00000000BF08: 0B0A0B85
	v_mul_f32_e32 v134, v134, v6                               // 00000000BF0C: 0B0C0D86
	v_mul_f32_e32 v135, v135, v7                               // 00000000BF10: 0B0E0F87
	v_mul_f32_e32 v132, v132, v228                             // 00000000BF14: 0B09C984
	v_mul_f32_e32 v133, v133, v229                             // 00000000BF18: 0B0BCB85
	v_mul_f32_e32 v134, v134, v230                             // 00000000BF1C: 0B0DCD86
	v_mul_f32_e32 v135, v135, v231                             // 00000000BF20: 0B0FCF87
	v_pk_mul_f32 v[4:5], v[136:137], v[136:137]                // 00000000BF24: D3B14004 18031188
	v_pk_mul_f32 v[6:7], v[138:139], v[138:139]                // 00000000BF2C: D3B14006 1803158A
	v_pk_fma_f32 v[4:5], v[4:5], s[78:79], v[8:9]              // 00000000BF34: D3B04004 1C209D04
	v_pk_fma_f32 v[6:7], v[6:7], s[78:79], v[8:9]              // 00000000BF3C: D3B04006 1C209D06
	v_pk_mul_f32 v[4:5], v[4:5], v[136:137]                    // 00000000BF44: D3B14004 18031104
	v_pk_mul_f32 v[6:7], v[6:7], v[138:139]                    // 00000000BF4C: D3B14006 18031506
	v_pk_mul_f32 v[4:5], v[4:5], s[60:61]                      // 00000000BF54: D3B14004 18007904
	v_pk_mul_f32 v[6:7], v[6:7], s[60:61]                      // 00000000BF5C: D3B14006 18007906
	v_exp_f32_e32 v4, v4                                       // 00000000BF64: 7E084104
	v_exp_f32_e32 v5, v5                                       // 00000000BF68: 7E0A4105
	v_exp_f32_e32 v6, v6                                       // 00000000BF6C: 7E0C4106
	v_exp_f32_e32 v7, v7                                       // 00000000BF70: 7E0E4107
	v_add_f32_e64 v4, v4, 1.0                                  // 00000000BF74: D1010004 0001E504
	v_add_f32_e64 v5, v5, 1.0                                  // 00000000BF7C: D1010005 0001E505
	v_add_f32_e64 v6, v6, 1.0                                  // 00000000BF84: D1010006 0001E506
	v_add_f32_e64 v7, v7, 1.0                                  // 00000000BF8C: D1010007 0001E507
	v_rcp_f32_e32 v4, v4                                       // 00000000BF94: 7E084504
	v_rcp_f32_e32 v5, v5                                       // 00000000BF98: 7E0A4505
	v_rcp_f32_e32 v6, v6                                       // 00000000BF9C: 7E0C4506
	v_rcp_f32_e32 v7, v7                                       // 00000000BFA0: 7E0E4507
	v_mul_f32_e32 v136, v136, v4                               // 00000000BFA4: 0B100988
	v_mul_f32_e32 v137, v137, v5                               // 00000000BFA8: 0B120B89
	v_mul_f32_e32 v138, v138, v6                               // 00000000BFAC: 0B140D8A
	v_mul_f32_e32 v139, v139, v7                               // 00000000BFB0: 0B160F8B
	v_mul_f32_e32 v136, v136, v232                             // 00000000BFB4: 0B11D188
	v_mul_f32_e32 v137, v137, v233                             // 00000000BFB8: 0B13D389
	v_mul_f32_e32 v138, v138, v234                             // 00000000BFBC: 0B15D58A
	v_mul_f32_e32 v139, v139, v235                             // 00000000BFC0: 0B17D78B
	v_pk_mul_f32 v[4:5], v[140:141], v[140:141]                // 00000000BFC4: D3B14004 1803198C
	v_pk_mul_f32 v[6:7], v[142:143], v[142:143]                // 00000000BFCC: D3B14006 18031D8E
	v_pk_fma_f32 v[4:5], v[4:5], s[78:79], v[8:9]              // 00000000BFD4: D3B04004 1C209D04
	v_pk_fma_f32 v[6:7], v[6:7], s[78:79], v[8:9]              // 00000000BFDC: D3B04006 1C209D06
	v_pk_mul_f32 v[4:5], v[4:5], v[140:141]                    // 00000000BFE4: D3B14004 18031904
	v_pk_mul_f32 v[6:7], v[6:7], v[142:143]                    // 00000000BFEC: D3B14006 18031D06
	v_pk_mul_f32 v[4:5], v[4:5], s[60:61]                      // 00000000BFF4: D3B14004 18007904
	v_pk_mul_f32 v[6:7], v[6:7], s[60:61]                      // 00000000BFFC: D3B14006 18007906
	v_exp_f32_e32 v4, v4                                       // 00000000C004: 7E084104
	v_exp_f32_e32 v5, v5                                       // 00000000C008: 7E0A4105
	v_exp_f32_e32 v6, v6                                       // 00000000C00C: 7E0C4106
	v_exp_f32_e32 v7, v7                                       // 00000000C010: 7E0E4107
	v_add_f32_e64 v4, v4, 1.0                                  // 00000000C014: D1010004 0001E504
	v_add_f32_e64 v5, v5, 1.0                                  // 00000000C01C: D1010005 0001E505
	v_add_f32_e64 v6, v6, 1.0                                  // 00000000C024: D1010006 0001E506
	v_add_f32_e64 v7, v7, 1.0                                  // 00000000C02C: D1010007 0001E507
	v_rcp_f32_e32 v4, v4                                       // 00000000C034: 7E084504
	v_rcp_f32_e32 v5, v5                                       // 00000000C038: 7E0A4505
	v_rcp_f32_e32 v6, v6                                       // 00000000C03C: 7E0C4506
	v_rcp_f32_e32 v7, v7                                       // 00000000C040: 7E0E4507
	v_mul_f32_e32 v140, v140, v4                               // 00000000C044: 0B18098C
	v_mul_f32_e32 v141, v141, v5                               // 00000000C048: 0B1A0B8D
	v_mul_f32_e32 v142, v142, v6                               // 00000000C04C: 0B1C0D8E
	v_mul_f32_e32 v143, v143, v7                               // 00000000C050: 0B1E0F8F
	v_mul_f32_e32 v140, v140, v236                             // 00000000C054: 0B19D98C
	v_mul_f32_e32 v141, v141, v237                             // 00000000C058: 0B1BDB8D
	v_mul_f32_e32 v142, v142, v238                             // 00000000C05C: 0B1DDD8E
	v_mul_f32_e32 v143, v143, v239                             // 00000000C060: 0B1FDF8F
	v_pk_mul_f32 v[4:5], v[144:145], v[144:145]                // 00000000C064: D3B14004 18032190
	v_pk_mul_f32 v[6:7], v[146:147], v[146:147]                // 00000000C06C: D3B14006 18032592
	v_pk_fma_f32 v[4:5], v[4:5], s[78:79], v[8:9]              // 00000000C074: D3B04004 1C209D04
	v_pk_fma_f32 v[6:7], v[6:7], s[78:79], v[8:9]              // 00000000C07C: D3B04006 1C209D06
	v_pk_mul_f32 v[4:5], v[4:5], v[144:145]                    // 00000000C084: D3B14004 18032104
	v_pk_mul_f32 v[6:7], v[6:7], v[146:147]                    // 00000000C08C: D3B14006 18032506
	v_pk_mul_f32 v[4:5], v[4:5], s[60:61]                      // 00000000C094: D3B14004 18007904
	v_pk_mul_f32 v[6:7], v[6:7], s[60:61]                      // 00000000C09C: D3B14006 18007906
	v_exp_f32_e32 v4, v4                                       // 00000000C0A4: 7E084104
	v_exp_f32_e32 v5, v5                                       // 00000000C0A8: 7E0A4105
	v_exp_f32_e32 v6, v6                                       // 00000000C0AC: 7E0C4106
	v_exp_f32_e32 v7, v7                                       // 00000000C0B0: 7E0E4107
	v_add_f32_e64 v4, v4, 1.0                                  // 00000000C0B4: D1010004 0001E504
	v_add_f32_e64 v5, v5, 1.0                                  // 00000000C0BC: D1010005 0001E505
	v_add_f32_e64 v6, v6, 1.0                                  // 00000000C0C4: D1010006 0001E506
	v_add_f32_e64 v7, v7, 1.0                                  // 00000000C0CC: D1010007 0001E507
	v_rcp_f32_e32 v4, v4                                       // 00000000C0D4: 7E084504
	v_rcp_f32_e32 v5, v5                                       // 00000000C0D8: 7E0A4505
	v_rcp_f32_e32 v6, v6                                       // 00000000C0DC: 7E0C4506
	v_rcp_f32_e32 v7, v7                                       // 00000000C0E0: 7E0E4507
	v_mul_f32_e32 v144, v144, v4                               // 00000000C0E4: 0B200990
	v_mul_f32_e32 v145, v145, v5                               // 00000000C0E8: 0B220B91
	v_mul_f32_e32 v146, v146, v6                               // 00000000C0EC: 0B240D92
	v_mul_f32_e32 v147, v147, v7                               // 00000000C0F0: 0B260F93
	v_mul_f32_e32 v144, v144, v240                             // 00000000C0F4: 0B21E190
	v_mul_f32_e32 v145, v145, v241                             // 00000000C0F8: 0B23E391
	v_mul_f32_e32 v146, v146, v242                             // 00000000C0FC: 0B25E592
	v_mul_f32_e32 v147, v147, v243                             // 00000000C100: 0B27E793
	v_pk_mul_f32 v[4:5], v[148:149], v[148:149]                // 00000000C104: D3B14004 18032994
	v_pk_mul_f32 v[6:7], v[150:151], v[150:151]                // 00000000C10C: D3B14006 18032D96
	v_pk_fma_f32 v[4:5], v[4:5], s[78:79], v[8:9]              // 00000000C114: D3B04004 1C209D04
	v_pk_fma_f32 v[6:7], v[6:7], s[78:79], v[8:9]              // 00000000C11C: D3B04006 1C209D06
	v_pk_mul_f32 v[4:5], v[4:5], v[148:149]                    // 00000000C124: D3B14004 18032904
	v_pk_mul_f32 v[6:7], v[6:7], v[150:151]                    // 00000000C12C: D3B14006 18032D06
	v_pk_mul_f32 v[4:5], v[4:5], s[60:61]                      // 00000000C134: D3B14004 18007904
	v_pk_mul_f32 v[6:7], v[6:7], s[60:61]                      // 00000000C13C: D3B14006 18007906
	v_exp_f32_e32 v4, v4                                       // 00000000C144: 7E084104
	v_exp_f32_e32 v5, v5                                       // 00000000C148: 7E0A4105
	v_exp_f32_e32 v6, v6                                       // 00000000C14C: 7E0C4106
	v_exp_f32_e32 v7, v7                                       // 00000000C150: 7E0E4107
	v_add_f32_e64 v4, v4, 1.0                                  // 00000000C154: D1010004 0001E504
	v_add_f32_e64 v5, v5, 1.0                                  // 00000000C15C: D1010005 0001E505
	v_add_f32_e64 v6, v6, 1.0                                  // 00000000C164: D1010006 0001E506
	v_add_f32_e64 v7, v7, 1.0                                  // 00000000C16C: D1010007 0001E507
	v_rcp_f32_e32 v4, v4                                       // 00000000C174: 7E084504
	v_rcp_f32_e32 v5, v5                                       // 00000000C178: 7E0A4505
	v_rcp_f32_e32 v6, v6                                       // 00000000C17C: 7E0C4506
	v_rcp_f32_e32 v7, v7                                       // 00000000C180: 7E0E4507
	v_mul_f32_e32 v148, v148, v4                               // 00000000C184: 0B280994
	v_mul_f32_e32 v149, v149, v5                               // 00000000C188: 0B2A0B95
	v_mul_f32_e32 v150, v150, v6                               // 00000000C18C: 0B2C0D96
	v_mul_f32_e32 v151, v151, v7                               // 00000000C190: 0B2E0F97
	v_mul_f32_e32 v148, v148, v244                             // 00000000C194: 0B29E994
	v_mul_f32_e32 v149, v149, v245                             // 00000000C198: 0B2BEB95
	v_mul_f32_e32 v150, v150, v246                             // 00000000C19C: 0B2DED96
	v_mul_f32_e32 v151, v151, v247                             // 00000000C1A0: 0B2FEF97
	s_branch label_28ED                                        // 00000000C1A4: BF820300

000000000000c1a8 <label_25ED>:
	v_mul_f32_e64 v4, -v56, s6                                 // 00000000C1A8: D1050004 20000D38
	v_mul_f32_e64 v5, -v57, s6                                 // 00000000C1B0: D1050005 20000D39
	v_mul_f32_e64 v6, -v58, s6                                 // 00000000C1B8: D1050006 20000D3A
	v_mul_f32_e64 v7, -v59, s6                                 // 00000000C1C0: D1050007 20000D3B
	v_exp_f32_e32 v4, v4                                       // 00000000C1C8: 7E084104
	v_exp_f32_e32 v5, v5                                       // 00000000C1CC: 7E0A4105
	v_exp_f32_e32 v6, v6                                       // 00000000C1D0: 7E0C4106
	v_exp_f32_e32 v7, v7                                       // 00000000C1D4: 7E0E4107
	v_add_f32_e64 v4, v4, 1.0                                  // 00000000C1D8: D1010004 0001E504
	v_add_f32_e64 v5, v5, 1.0                                  // 00000000C1E0: D1010005 0001E505
	v_add_f32_e64 v6, v6, 1.0                                  // 00000000C1E8: D1010006 0001E506
	v_add_f32_e64 v7, v7, 1.0                                  // 00000000C1F0: D1010007 0001E507
	v_rcp_f32_e32 v4, v4                                       // 00000000C1F8: 7E084504
	v_rcp_f32_e32 v5, v5                                       // 00000000C1FC: 7E0A4505
	v_rcp_f32_e32 v6, v6                                       // 00000000C200: 7E0C4506
	v_rcp_f32_e32 v7, v7                                       // 00000000C204: 7E0E4507
	v_mul_f32_e32 v56, v56, v4                                 // 00000000C208: 0A700938
	v_mul_f32_e32 v57, v57, v5                                 // 00000000C20C: 0A720B39
	v_mul_f32_e32 v58, v58, v6                                 // 00000000C210: 0A740D3A
	v_mul_f32_e32 v59, v59, v7                                 // 00000000C214: 0A760F3B
	v_mul_f32_e32 v56, v56, v152                               // 00000000C218: 0A713138
	v_mul_f32_e32 v57, v57, v153                               // 00000000C21C: 0A733339
	v_mul_f32_e32 v58, v58, v154                               // 00000000C220: 0A75353A
	v_mul_f32_e32 v59, v59, v155                               // 00000000C224: 0A77373B
	v_mul_f32_e64 v4, -v60, s6                                 // 00000000C228: D1050004 20000D3C
	v_mul_f32_e64 v5, -v61, s6                                 // 00000000C230: D1050005 20000D3D
	v_mul_f32_e64 v6, -v62, s6                                 // 00000000C238: D1050006 20000D3E
	v_mul_f32_e64 v7, -v63, s6                                 // 00000000C240: D1050007 20000D3F
	v_exp_f32_e32 v4, v4                                       // 00000000C248: 7E084104
	v_exp_f32_e32 v5, v5                                       // 00000000C24C: 7E0A4105
	v_exp_f32_e32 v6, v6                                       // 00000000C250: 7E0C4106
	v_exp_f32_e32 v7, v7                                       // 00000000C254: 7E0E4107
	v_add_f32_e64 v4, v4, 1.0                                  // 00000000C258: D1010004 0001E504
	v_add_f32_e64 v5, v5, 1.0                                  // 00000000C260: D1010005 0001E505
	v_add_f32_e64 v6, v6, 1.0                                  // 00000000C268: D1010006 0001E506
	v_add_f32_e64 v7, v7, 1.0                                  // 00000000C270: D1010007 0001E507
	v_rcp_f32_e32 v4, v4                                       // 00000000C278: 7E084504
	v_rcp_f32_e32 v5, v5                                       // 00000000C27C: 7E0A4505
	v_rcp_f32_e32 v6, v6                                       // 00000000C280: 7E0C4506
	v_rcp_f32_e32 v7, v7                                       // 00000000C284: 7E0E4507
	v_mul_f32_e32 v60, v60, v4                                 // 00000000C288: 0A78093C
	v_mul_f32_e32 v61, v61, v5                                 // 00000000C28C: 0A7A0B3D
	v_mul_f32_e32 v62, v62, v6                                 // 00000000C290: 0A7C0D3E
	v_mul_f32_e32 v63, v63, v7                                 // 00000000C294: 0A7E0F3F
	v_mul_f32_e32 v60, v60, v156                               // 00000000C298: 0A79393C
	v_mul_f32_e32 v61, v61, v157                               // 00000000C29C: 0A7B3B3D
	v_mul_f32_e32 v62, v62, v158                               // 00000000C2A0: 0A7D3D3E
	v_mul_f32_e32 v63, v63, v159                               // 00000000C2A4: 0A7F3F3F
	v_mul_f32_e64 v4, -v64, s6                                 // 00000000C2A8: D1050004 20000D40
	v_mul_f32_e64 v5, -v65, s6                                 // 00000000C2B0: D1050005 20000D41
	v_mul_f32_e64 v6, -v66, s6                                 // 00000000C2B8: D1050006 20000D42
	v_mul_f32_e64 v7, -v67, s6                                 // 00000000C2C0: D1050007 20000D43
	v_exp_f32_e32 v4, v4                                       // 00000000C2C8: 7E084104
	v_exp_f32_e32 v5, v5                                       // 00000000C2CC: 7E0A4105
	v_exp_f32_e32 v6, v6                                       // 00000000C2D0: 7E0C4106
	v_exp_f32_e32 v7, v7                                       // 00000000C2D4: 7E0E4107
	v_add_f32_e64 v4, v4, 1.0                                  // 00000000C2D8: D1010004 0001E504
	v_add_f32_e64 v5, v5, 1.0                                  // 00000000C2E0: D1010005 0001E505
	v_add_f32_e64 v6, v6, 1.0                                  // 00000000C2E8: D1010006 0001E506
	v_add_f32_e64 v7, v7, 1.0                                  // 00000000C2F0: D1010007 0001E507
	v_rcp_f32_e32 v4, v4                                       // 00000000C2F8: 7E084504
	v_rcp_f32_e32 v5, v5                                       // 00000000C2FC: 7E0A4505
	v_rcp_f32_e32 v6, v6                                       // 00000000C300: 7E0C4506
	v_rcp_f32_e32 v7, v7                                       // 00000000C304: 7E0E4507
	v_mul_f32_e32 v64, v64, v4                                 // 00000000C308: 0A800940
	v_mul_f32_e32 v65, v65, v5                                 // 00000000C30C: 0A820B41
	v_mul_f32_e32 v66, v66, v6                                 // 00000000C310: 0A840D42
	v_mul_f32_e32 v67, v67, v7                                 // 00000000C314: 0A860F43
	v_mul_f32_e32 v64, v64, v160                               // 00000000C318: 0A814140
	v_mul_f32_e32 v65, v65, v161                               // 00000000C31C: 0A834341
	v_mul_f32_e32 v66, v66, v162                               // 00000000C320: 0A854542
	v_mul_f32_e32 v67, v67, v163                               // 00000000C324: 0A874743
	v_mul_f32_e64 v4, -v68, s6                                 // 00000000C328: D1050004 20000D44
	v_mul_f32_e64 v5, -v69, s6                                 // 00000000C330: D1050005 20000D45
	v_mul_f32_e64 v6, -v70, s6                                 // 00000000C338: D1050006 20000D46
	v_mul_f32_e64 v7, -v71, s6                                 // 00000000C340: D1050007 20000D47
	v_exp_f32_e32 v4, v4                                       // 00000000C348: 7E084104
	v_exp_f32_e32 v5, v5                                       // 00000000C34C: 7E0A4105
	v_exp_f32_e32 v6, v6                                       // 00000000C350: 7E0C4106
	v_exp_f32_e32 v7, v7                                       // 00000000C354: 7E0E4107
	v_add_f32_e64 v4, v4, 1.0                                  // 00000000C358: D1010004 0001E504
	v_add_f32_e64 v5, v5, 1.0                                  // 00000000C360: D1010005 0001E505
	v_add_f32_e64 v6, v6, 1.0                                  // 00000000C368: D1010006 0001E506
	v_add_f32_e64 v7, v7, 1.0                                  // 00000000C370: D1010007 0001E507
	v_rcp_f32_e32 v4, v4                                       // 00000000C378: 7E084504
	v_rcp_f32_e32 v5, v5                                       // 00000000C37C: 7E0A4505
	v_rcp_f32_e32 v6, v6                                       // 00000000C380: 7E0C4506
	v_rcp_f32_e32 v7, v7                                       // 00000000C384: 7E0E4507
	v_mul_f32_e32 v68, v68, v4                                 // 00000000C388: 0A880944
	v_mul_f32_e32 v69, v69, v5                                 // 00000000C38C: 0A8A0B45
	v_mul_f32_e32 v70, v70, v6                                 // 00000000C390: 0A8C0D46
	v_mul_f32_e32 v71, v71, v7                                 // 00000000C394: 0A8E0F47
	v_mul_f32_e32 v68, v68, v164                               // 00000000C398: 0A894944
	v_mul_f32_e32 v69, v69, v165                               // 00000000C39C: 0A8B4B45
	v_mul_f32_e32 v70, v70, v166                               // 00000000C3A0: 0A8D4D46
	v_mul_f32_e32 v71, v71, v167                               // 00000000C3A4: 0A8F4F47
	v_mul_f32_e64 v4, -v72, s6                                 // 00000000C3A8: D1050004 20000D48
	v_mul_f32_e64 v5, -v73, s6                                 // 00000000C3B0: D1050005 20000D49
	v_mul_f32_e64 v6, -v74, s6                                 // 00000000C3B8: D1050006 20000D4A
	v_mul_f32_e64 v7, -v75, s6                                 // 00000000C3C0: D1050007 20000D4B
	v_exp_f32_e32 v4, v4                                       // 00000000C3C8: 7E084104
	v_exp_f32_e32 v5, v5                                       // 00000000C3CC: 7E0A4105
	v_exp_f32_e32 v6, v6                                       // 00000000C3D0: 7E0C4106
	v_exp_f32_e32 v7, v7                                       // 00000000C3D4: 7E0E4107
	v_add_f32_e64 v4, v4, 1.0                                  // 00000000C3D8: D1010004 0001E504
	v_add_f32_e64 v5, v5, 1.0                                  // 00000000C3E0: D1010005 0001E505
	v_add_f32_e64 v6, v6, 1.0                                  // 00000000C3E8: D1010006 0001E506
	v_add_f32_e64 v7, v7, 1.0                                  // 00000000C3F0: D1010007 0001E507
	v_rcp_f32_e32 v4, v4                                       // 00000000C3F8: 7E084504
	v_rcp_f32_e32 v5, v5                                       // 00000000C3FC: 7E0A4505
	v_rcp_f32_e32 v6, v6                                       // 00000000C400: 7E0C4506
	v_rcp_f32_e32 v7, v7                                       // 00000000C404: 7E0E4507
	v_mul_f32_e32 v72, v72, v4                                 // 00000000C408: 0A900948
	v_mul_f32_e32 v73, v73, v5                                 // 00000000C40C: 0A920B49
	v_mul_f32_e32 v74, v74, v6                                 // 00000000C410: 0A940D4A
	v_mul_f32_e32 v75, v75, v7                                 // 00000000C414: 0A960F4B
	v_mul_f32_e32 v72, v72, v168                               // 00000000C418: 0A915148
	v_mul_f32_e32 v73, v73, v169                               // 00000000C41C: 0A935349
	v_mul_f32_e32 v74, v74, v170                               // 00000000C420: 0A95554A
	v_mul_f32_e32 v75, v75, v171                               // 00000000C424: 0A97574B
	v_mul_f32_e64 v4, -v76, s6                                 // 00000000C428: D1050004 20000D4C
	v_mul_f32_e64 v5, -v77, s6                                 // 00000000C430: D1050005 20000D4D
	v_mul_f32_e64 v6, -v78, s6                                 // 00000000C438: D1050006 20000D4E
	v_mul_f32_e64 v7, -v79, s6                                 // 00000000C440: D1050007 20000D4F
	v_exp_f32_e32 v4, v4                                       // 00000000C448: 7E084104
	v_exp_f32_e32 v5, v5                                       // 00000000C44C: 7E0A4105
	v_exp_f32_e32 v6, v6                                       // 00000000C450: 7E0C4106
	v_exp_f32_e32 v7, v7                                       // 00000000C454: 7E0E4107
	v_add_f32_e64 v4, v4, 1.0                                  // 00000000C458: D1010004 0001E504
	v_add_f32_e64 v5, v5, 1.0                                  // 00000000C460: D1010005 0001E505
	v_add_f32_e64 v6, v6, 1.0                                  // 00000000C468: D1010006 0001E506
	v_add_f32_e64 v7, v7, 1.0                                  // 00000000C470: D1010007 0001E507
	v_rcp_f32_e32 v4, v4                                       // 00000000C478: 7E084504
	v_rcp_f32_e32 v5, v5                                       // 00000000C47C: 7E0A4505
	v_rcp_f32_e32 v6, v6                                       // 00000000C480: 7E0C4506
	v_rcp_f32_e32 v7, v7                                       // 00000000C484: 7E0E4507
	v_mul_f32_e32 v76, v76, v4                                 // 00000000C488: 0A98094C
	v_mul_f32_e32 v77, v77, v5                                 // 00000000C48C: 0A9A0B4D
	v_mul_f32_e32 v78, v78, v6                                 // 00000000C490: 0A9C0D4E
	v_mul_f32_e32 v79, v79, v7                                 // 00000000C494: 0A9E0F4F
	v_mul_f32_e32 v76, v76, v172                               // 00000000C498: 0A99594C
	v_mul_f32_e32 v77, v77, v173                               // 00000000C49C: 0A9B5B4D
	v_mul_f32_e32 v78, v78, v174                               // 00000000C4A0: 0A9D5D4E
	v_mul_f32_e32 v79, v79, v175                               // 00000000C4A4: 0A9F5F4F
	v_mul_f32_e64 v4, -v80, s6                                 // 00000000C4A8: D1050004 20000D50
	v_mul_f32_e64 v5, -v81, s6                                 // 00000000C4B0: D1050005 20000D51
	v_mul_f32_e64 v6, -v82, s6                                 // 00000000C4B8: D1050006 20000D52
	v_mul_f32_e64 v7, -v83, s6                                 // 00000000C4C0: D1050007 20000D53
	v_exp_f32_e32 v4, v4                                       // 00000000C4C8: 7E084104
	v_exp_f32_e32 v5, v5                                       // 00000000C4CC: 7E0A4105
	v_exp_f32_e32 v6, v6                                       // 00000000C4D0: 7E0C4106
	v_exp_f32_e32 v7, v7                                       // 00000000C4D4: 7E0E4107
	v_add_f32_e64 v4, v4, 1.0                                  // 00000000C4D8: D1010004 0001E504
	v_add_f32_e64 v5, v5, 1.0                                  // 00000000C4E0: D1010005 0001E505
	v_add_f32_e64 v6, v6, 1.0                                  // 00000000C4E8: D1010006 0001E506
	v_add_f32_e64 v7, v7, 1.0                                  // 00000000C4F0: D1010007 0001E507
	v_rcp_f32_e32 v4, v4                                       // 00000000C4F8: 7E084504
	v_rcp_f32_e32 v5, v5                                       // 00000000C4FC: 7E0A4505
	v_rcp_f32_e32 v6, v6                                       // 00000000C500: 7E0C4506
	v_rcp_f32_e32 v7, v7                                       // 00000000C504: 7E0E4507
	v_mul_f32_e32 v80, v80, v4                                 // 00000000C508: 0AA00950
	v_mul_f32_e32 v81, v81, v5                                 // 00000000C50C: 0AA20B51
	v_mul_f32_e32 v82, v82, v6                                 // 00000000C510: 0AA40D52
	v_mul_f32_e32 v83, v83, v7                                 // 00000000C514: 0AA60F53
	v_mul_f32_e32 v80, v80, v176                               // 00000000C518: 0AA16150
	v_mul_f32_e32 v81, v81, v177                               // 00000000C51C: 0AA36351
	v_mul_f32_e32 v82, v82, v178                               // 00000000C520: 0AA56552
	v_mul_f32_e32 v83, v83, v179                               // 00000000C524: 0AA76753
	v_mul_f32_e64 v4, -v84, s6                                 // 00000000C528: D1050004 20000D54
	v_mul_f32_e64 v5, -v85, s6                                 // 00000000C530: D1050005 20000D55
	v_mul_f32_e64 v6, -v86, s6                                 // 00000000C538: D1050006 20000D56
	v_mul_f32_e64 v7, -v87, s6                                 // 00000000C540: D1050007 20000D57
	v_exp_f32_e32 v4, v4                                       // 00000000C548: 7E084104
	v_exp_f32_e32 v5, v5                                       // 00000000C54C: 7E0A4105
	v_exp_f32_e32 v6, v6                                       // 00000000C550: 7E0C4106
	v_exp_f32_e32 v7, v7                                       // 00000000C554: 7E0E4107
	v_add_f32_e64 v4, v4, 1.0                                  // 00000000C558: D1010004 0001E504
	v_add_f32_e64 v5, v5, 1.0                                  // 00000000C560: D1010005 0001E505
	v_add_f32_e64 v6, v6, 1.0                                  // 00000000C568: D1010006 0001E506
	v_add_f32_e64 v7, v7, 1.0                                  // 00000000C570: D1010007 0001E507
	v_rcp_f32_e32 v4, v4                                       // 00000000C578: 7E084504
	v_rcp_f32_e32 v5, v5                                       // 00000000C57C: 7E0A4505
	v_rcp_f32_e32 v6, v6                                       // 00000000C580: 7E0C4506
	v_rcp_f32_e32 v7, v7                                       // 00000000C584: 7E0E4507
	v_mul_f32_e32 v84, v84, v4                                 // 00000000C588: 0AA80954
	v_mul_f32_e32 v85, v85, v5                                 // 00000000C58C: 0AAA0B55
	v_mul_f32_e32 v86, v86, v6                                 // 00000000C590: 0AAC0D56
	v_mul_f32_e32 v87, v87, v7                                 // 00000000C594: 0AAE0F57
	v_mul_f32_e32 v84, v84, v180                               // 00000000C598: 0AA96954
	v_mul_f32_e32 v85, v85, v181                               // 00000000C59C: 0AAB6B55
	v_mul_f32_e32 v86, v86, v182                               // 00000000C5A0: 0AAD6D56
	v_mul_f32_e32 v87, v87, v183                               // 00000000C5A4: 0AAF6F57
	v_mul_f32_e64 v4, -v88, s6                                 // 00000000C5A8: D1050004 20000D58
	v_mul_f32_e64 v5, -v89, s6                                 // 00000000C5B0: D1050005 20000D59
	v_mul_f32_e64 v6, -v90, s6                                 // 00000000C5B8: D1050006 20000D5A
	v_mul_f32_e64 v7, -v91, s6                                 // 00000000C5C0: D1050007 20000D5B
	v_exp_f32_e32 v4, v4                                       // 00000000C5C8: 7E084104
	v_exp_f32_e32 v5, v5                                       // 00000000C5CC: 7E0A4105
	v_exp_f32_e32 v6, v6                                       // 00000000C5D0: 7E0C4106
	v_exp_f32_e32 v7, v7                                       // 00000000C5D4: 7E0E4107
	v_add_f32_e64 v4, v4, 1.0                                  // 00000000C5D8: D1010004 0001E504
	v_add_f32_e64 v5, v5, 1.0                                  // 00000000C5E0: D1010005 0001E505
	v_add_f32_e64 v6, v6, 1.0                                  // 00000000C5E8: D1010006 0001E506
	v_add_f32_e64 v7, v7, 1.0                                  // 00000000C5F0: D1010007 0001E507
	v_rcp_f32_e32 v4, v4                                       // 00000000C5F8: 7E084504
	v_rcp_f32_e32 v5, v5                                       // 00000000C5FC: 7E0A4505
	v_rcp_f32_e32 v6, v6                                       // 00000000C600: 7E0C4506
	v_rcp_f32_e32 v7, v7                                       // 00000000C604: 7E0E4507
	v_mul_f32_e32 v88, v88, v4                                 // 00000000C608: 0AB00958
	v_mul_f32_e32 v89, v89, v5                                 // 00000000C60C: 0AB20B59
	v_mul_f32_e32 v90, v90, v6                                 // 00000000C610: 0AB40D5A
	v_mul_f32_e32 v91, v91, v7                                 // 00000000C614: 0AB60F5B
	v_mul_f32_e32 v88, v88, v184                               // 00000000C618: 0AB17158
	v_mul_f32_e32 v89, v89, v185                               // 00000000C61C: 0AB37359
	v_mul_f32_e32 v90, v90, v186                               // 00000000C620: 0AB5755A
	v_mul_f32_e32 v91, v91, v187                               // 00000000C624: 0AB7775B
	v_mul_f32_e64 v4, -v92, s6                                 // 00000000C628: D1050004 20000D5C
	v_mul_f32_e64 v5, -v93, s6                                 // 00000000C630: D1050005 20000D5D
	v_mul_f32_e64 v6, -v94, s6                                 // 00000000C638: D1050006 20000D5E
	v_mul_f32_e64 v7, -v95, s6                                 // 00000000C640: D1050007 20000D5F
	v_exp_f32_e32 v4, v4                                       // 00000000C648: 7E084104
	v_exp_f32_e32 v5, v5                                       // 00000000C64C: 7E0A4105
	v_exp_f32_e32 v6, v6                                       // 00000000C650: 7E0C4106
	v_exp_f32_e32 v7, v7                                       // 00000000C654: 7E0E4107
	v_add_f32_e64 v4, v4, 1.0                                  // 00000000C658: D1010004 0001E504
	v_add_f32_e64 v5, v5, 1.0                                  // 00000000C660: D1010005 0001E505
	v_add_f32_e64 v6, v6, 1.0                                  // 00000000C668: D1010006 0001E506
	v_add_f32_e64 v7, v7, 1.0                                  // 00000000C670: D1010007 0001E507
	v_rcp_f32_e32 v4, v4                                       // 00000000C678: 7E084504
	v_rcp_f32_e32 v5, v5                                       // 00000000C67C: 7E0A4505
	v_rcp_f32_e32 v6, v6                                       // 00000000C680: 7E0C4506
	v_rcp_f32_e32 v7, v7                                       // 00000000C684: 7E0E4507
	v_mul_f32_e32 v92, v92, v4                                 // 00000000C688: 0AB8095C
	v_mul_f32_e32 v93, v93, v5                                 // 00000000C68C: 0ABA0B5D
	v_mul_f32_e32 v94, v94, v6                                 // 00000000C690: 0ABC0D5E
	v_mul_f32_e32 v95, v95, v7                                 // 00000000C694: 0ABE0F5F
	v_mul_f32_e32 v92, v92, v188                               // 00000000C698: 0AB9795C
	v_mul_f32_e32 v93, v93, v189                               // 00000000C69C: 0ABB7B5D
	v_mul_f32_e32 v94, v94, v190                               // 00000000C6A0: 0ABD7D5E
	v_mul_f32_e32 v95, v95, v191                               // 00000000C6A4: 0ABF7F5F
	v_mul_f32_e64 v4, -v96, s6                                 // 00000000C6A8: D1050004 20000D60
	v_mul_f32_e64 v5, -v97, s6                                 // 00000000C6B0: D1050005 20000D61
	v_mul_f32_e64 v6, -v98, s6                                 // 00000000C6B8: D1050006 20000D62
	v_mul_f32_e64 v7, -v99, s6                                 // 00000000C6C0: D1050007 20000D63
	v_exp_f32_e32 v4, v4                                       // 00000000C6C8: 7E084104
	v_exp_f32_e32 v5, v5                                       // 00000000C6CC: 7E0A4105
	v_exp_f32_e32 v6, v6                                       // 00000000C6D0: 7E0C4106
	v_exp_f32_e32 v7, v7                                       // 00000000C6D4: 7E0E4107
	v_add_f32_e64 v4, v4, 1.0                                  // 00000000C6D8: D1010004 0001E504
	v_add_f32_e64 v5, v5, 1.0                                  // 00000000C6E0: D1010005 0001E505
	v_add_f32_e64 v6, v6, 1.0                                  // 00000000C6E8: D1010006 0001E506
	v_add_f32_e64 v7, v7, 1.0                                  // 00000000C6F0: D1010007 0001E507
	v_rcp_f32_e32 v4, v4                                       // 00000000C6F8: 7E084504
	v_rcp_f32_e32 v5, v5                                       // 00000000C6FC: 7E0A4505
	v_rcp_f32_e32 v6, v6                                       // 00000000C700: 7E0C4506
	v_rcp_f32_e32 v7, v7                                       // 00000000C704: 7E0E4507
	v_mul_f32_e32 v96, v96, v4                                 // 00000000C708: 0AC00960
	v_mul_f32_e32 v97, v97, v5                                 // 00000000C70C: 0AC20B61
	v_mul_f32_e32 v98, v98, v6                                 // 00000000C710: 0AC40D62
	v_mul_f32_e32 v99, v99, v7                                 // 00000000C714: 0AC60F63
	v_mul_f32_e32 v96, v96, v192                               // 00000000C718: 0AC18160
	v_mul_f32_e32 v97, v97, v193                               // 00000000C71C: 0AC38361
	v_mul_f32_e32 v98, v98, v194                               // 00000000C720: 0AC58562
	v_mul_f32_e32 v99, v99, v195                               // 00000000C724: 0AC78763
	v_mul_f32_e64 v4, -v100, s6                                // 00000000C728: D1050004 20000D64
	v_mul_f32_e64 v5, -v101, s6                                // 00000000C730: D1050005 20000D65
	v_mul_f32_e64 v6, -v102, s6                                // 00000000C738: D1050006 20000D66
	v_mul_f32_e64 v7, -v103, s6                                // 00000000C740: D1050007 20000D67
	v_exp_f32_e32 v4, v4                                       // 00000000C748: 7E084104
	v_exp_f32_e32 v5, v5                                       // 00000000C74C: 7E0A4105
	v_exp_f32_e32 v6, v6                                       // 00000000C750: 7E0C4106
	v_exp_f32_e32 v7, v7                                       // 00000000C754: 7E0E4107
	v_add_f32_e64 v4, v4, 1.0                                  // 00000000C758: D1010004 0001E504
	v_add_f32_e64 v5, v5, 1.0                                  // 00000000C760: D1010005 0001E505
	v_add_f32_e64 v6, v6, 1.0                                  // 00000000C768: D1010006 0001E506
	v_add_f32_e64 v7, v7, 1.0                                  // 00000000C770: D1010007 0001E507
	v_rcp_f32_e32 v4, v4                                       // 00000000C778: 7E084504
	v_rcp_f32_e32 v5, v5                                       // 00000000C77C: 7E0A4505
	v_rcp_f32_e32 v6, v6                                       // 00000000C780: 7E0C4506
	v_rcp_f32_e32 v7, v7                                       // 00000000C784: 7E0E4507
	v_mul_f32_e32 v100, v100, v4                               // 00000000C788: 0AC80964
	v_mul_f32_e32 v101, v101, v5                               // 00000000C78C: 0ACA0B65
	v_mul_f32_e32 v102, v102, v6                               // 00000000C790: 0ACC0D66
	v_mul_f32_e32 v103, v103, v7                               // 00000000C794: 0ACE0F67
	v_mul_f32_e32 v100, v100, v196                             // 00000000C798: 0AC98964
	v_mul_f32_e32 v101, v101, v197                             // 00000000C79C: 0ACB8B65
	v_mul_f32_e32 v102, v102, v198                             // 00000000C7A0: 0ACD8D66
	v_mul_f32_e32 v103, v103, v199                             // 00000000C7A4: 0ACF8F67
	v_mul_f32_e64 v4, -v104, s6                                // 00000000C7A8: D1050004 20000D68
	v_mul_f32_e64 v5, -v105, s6                                // 00000000C7B0: D1050005 20000D69
	v_mul_f32_e64 v6, -v106, s6                                // 00000000C7B8: D1050006 20000D6A
	v_mul_f32_e64 v7, -v107, s6                                // 00000000C7C0: D1050007 20000D6B
	v_exp_f32_e32 v4, v4                                       // 00000000C7C8: 7E084104
	v_exp_f32_e32 v5, v5                                       // 00000000C7CC: 7E0A4105
	v_exp_f32_e32 v6, v6                                       // 00000000C7D0: 7E0C4106
	v_exp_f32_e32 v7, v7                                       // 00000000C7D4: 7E0E4107
	v_add_f32_e64 v4, v4, 1.0                                  // 00000000C7D8: D1010004 0001E504
	v_add_f32_e64 v5, v5, 1.0                                  // 00000000C7E0: D1010005 0001E505
	v_add_f32_e64 v6, v6, 1.0                                  // 00000000C7E8: D1010006 0001E506
	v_add_f32_e64 v7, v7, 1.0                                  // 00000000C7F0: D1010007 0001E507
	v_rcp_f32_e32 v4, v4                                       // 00000000C7F8: 7E084504
	v_rcp_f32_e32 v5, v5                                       // 00000000C7FC: 7E0A4505
	v_rcp_f32_e32 v6, v6                                       // 00000000C800: 7E0C4506
	v_rcp_f32_e32 v7, v7                                       // 00000000C804: 7E0E4507
	v_mul_f32_e32 v104, v104, v4                               // 00000000C808: 0AD00968
	v_mul_f32_e32 v105, v105, v5                               // 00000000C80C: 0AD20B69
	v_mul_f32_e32 v106, v106, v6                               // 00000000C810: 0AD40D6A
	v_mul_f32_e32 v107, v107, v7                               // 00000000C814: 0AD60F6B
	v_mul_f32_e32 v104, v104, v200                             // 00000000C818: 0AD19168
	v_mul_f32_e32 v105, v105, v201                             // 00000000C81C: 0AD39369
	v_mul_f32_e32 v106, v106, v202                             // 00000000C820: 0AD5956A
	v_mul_f32_e32 v107, v107, v203                             // 00000000C824: 0AD7976B
	v_mul_f32_e64 v4, -v108, s6                                // 00000000C828: D1050004 20000D6C
	v_mul_f32_e64 v5, -v109, s6                                // 00000000C830: D1050005 20000D6D
	v_mul_f32_e64 v6, -v110, s6                                // 00000000C838: D1050006 20000D6E
	v_mul_f32_e64 v7, -v111, s6                                // 00000000C840: D1050007 20000D6F
	v_exp_f32_e32 v4, v4                                       // 00000000C848: 7E084104
	v_exp_f32_e32 v5, v5                                       // 00000000C84C: 7E0A4105
	v_exp_f32_e32 v6, v6                                       // 00000000C850: 7E0C4106
	v_exp_f32_e32 v7, v7                                       // 00000000C854: 7E0E4107
	v_add_f32_e64 v4, v4, 1.0                                  // 00000000C858: D1010004 0001E504
	v_add_f32_e64 v5, v5, 1.0                                  // 00000000C860: D1010005 0001E505
	v_add_f32_e64 v6, v6, 1.0                                  // 00000000C868: D1010006 0001E506
	v_add_f32_e64 v7, v7, 1.0                                  // 00000000C870: D1010007 0001E507
	v_rcp_f32_e32 v4, v4                                       // 00000000C878: 7E084504
	v_rcp_f32_e32 v5, v5                                       // 00000000C87C: 7E0A4505
	v_rcp_f32_e32 v6, v6                                       // 00000000C880: 7E0C4506
	v_rcp_f32_e32 v7, v7                                       // 00000000C884: 7E0E4507
	v_mul_f32_e32 v108, v108, v4                               // 00000000C888: 0AD8096C
	v_mul_f32_e32 v109, v109, v5                               // 00000000C88C: 0ADA0B6D
	v_mul_f32_e32 v110, v110, v6                               // 00000000C890: 0ADC0D6E
	v_mul_f32_e32 v111, v111, v7                               // 00000000C894: 0ADE0F6F
	v_mul_f32_e32 v108, v108, v204                             // 00000000C898: 0AD9996C
	v_mul_f32_e32 v109, v109, v205                             // 00000000C89C: 0ADB9B6D
	v_mul_f32_e32 v110, v110, v206                             // 00000000C8A0: 0ADD9D6E
	v_mul_f32_e32 v111, v111, v207                             // 00000000C8A4: 0ADF9F6F
	v_mul_f32_e64 v4, -v112, s6                                // 00000000C8A8: D1050004 20000D70
	v_mul_f32_e64 v5, -v113, s6                                // 00000000C8B0: D1050005 20000D71
	v_mul_f32_e64 v6, -v114, s6                                // 00000000C8B8: D1050006 20000D72
	v_mul_f32_e64 v7, -v115, s6                                // 00000000C8C0: D1050007 20000D73
	v_exp_f32_e32 v4, v4                                       // 00000000C8C8: 7E084104
	v_exp_f32_e32 v5, v5                                       // 00000000C8CC: 7E0A4105
	v_exp_f32_e32 v6, v6                                       // 00000000C8D0: 7E0C4106
	v_exp_f32_e32 v7, v7                                       // 00000000C8D4: 7E0E4107
	v_add_f32_e64 v4, v4, 1.0                                  // 00000000C8D8: D1010004 0001E504
	v_add_f32_e64 v5, v5, 1.0                                  // 00000000C8E0: D1010005 0001E505
	v_add_f32_e64 v6, v6, 1.0                                  // 00000000C8E8: D1010006 0001E506
	v_add_f32_e64 v7, v7, 1.0                                  // 00000000C8F0: D1010007 0001E507
	v_rcp_f32_e32 v4, v4                                       // 00000000C8F8: 7E084504
	v_rcp_f32_e32 v5, v5                                       // 00000000C8FC: 7E0A4505
	v_rcp_f32_e32 v6, v6                                       // 00000000C900: 7E0C4506
	v_rcp_f32_e32 v7, v7                                       // 00000000C904: 7E0E4507
	v_mul_f32_e32 v112, v112, v4                               // 00000000C908: 0AE00970
	v_mul_f32_e32 v113, v113, v5                               // 00000000C90C: 0AE20B71
	v_mul_f32_e32 v114, v114, v6                               // 00000000C910: 0AE40D72
	v_mul_f32_e32 v115, v115, v7                               // 00000000C914: 0AE60F73
	v_mul_f32_e32 v112, v112, v208                             // 00000000C918: 0AE1A170
	v_mul_f32_e32 v113, v113, v209                             // 00000000C91C: 0AE3A371
	v_mul_f32_e32 v114, v114, v210                             // 00000000C920: 0AE5A572
	v_mul_f32_e32 v115, v115, v211                             // 00000000C924: 0AE7A773
	v_mul_f32_e64 v4, -v116, s6                                // 00000000C928: D1050004 20000D74
	v_mul_f32_e64 v5, -v117, s6                                // 00000000C930: D1050005 20000D75
	v_mul_f32_e64 v6, -v118, s6                                // 00000000C938: D1050006 20000D76
	v_mul_f32_e64 v7, -v119, s6                                // 00000000C940: D1050007 20000D77
	v_exp_f32_e32 v4, v4                                       // 00000000C948: 7E084104
	v_exp_f32_e32 v5, v5                                       // 00000000C94C: 7E0A4105
	v_exp_f32_e32 v6, v6                                       // 00000000C950: 7E0C4106
	v_exp_f32_e32 v7, v7                                       // 00000000C954: 7E0E4107
	v_add_f32_e64 v4, v4, 1.0                                  // 00000000C958: D1010004 0001E504
	v_add_f32_e64 v5, v5, 1.0                                  // 00000000C960: D1010005 0001E505
	v_add_f32_e64 v6, v6, 1.0                                  // 00000000C968: D1010006 0001E506
	v_add_f32_e64 v7, v7, 1.0                                  // 00000000C970: D1010007 0001E507
	v_rcp_f32_e32 v4, v4                                       // 00000000C978: 7E084504
	v_rcp_f32_e32 v5, v5                                       // 00000000C97C: 7E0A4505
	v_rcp_f32_e32 v6, v6                                       // 00000000C980: 7E0C4506
	v_rcp_f32_e32 v7, v7                                       // 00000000C984: 7E0E4507
	v_mul_f32_e32 v116, v116, v4                               // 00000000C988: 0AE80974
	v_mul_f32_e32 v117, v117, v5                               // 00000000C98C: 0AEA0B75
	v_mul_f32_e32 v118, v118, v6                               // 00000000C990: 0AEC0D76
	v_mul_f32_e32 v119, v119, v7                               // 00000000C994: 0AEE0F77
	v_mul_f32_e32 v116, v116, v212                             // 00000000C998: 0AE9A974
	v_mul_f32_e32 v117, v117, v213                             // 00000000C99C: 0AEBAB75
	v_mul_f32_e32 v118, v118, v214                             // 00000000C9A0: 0AEDAD76
	v_mul_f32_e32 v119, v119, v215                             // 00000000C9A4: 0AEFAF77
	v_mul_f32_e64 v4, -v120, s6                                // 00000000C9A8: D1050004 20000D78
	v_mul_f32_e64 v5, -v121, s6                                // 00000000C9B0: D1050005 20000D79
	v_mul_f32_e64 v6, -v122, s6                                // 00000000C9B8: D1050006 20000D7A
	v_mul_f32_e64 v7, -v123, s6                                // 00000000C9C0: D1050007 20000D7B
	v_exp_f32_e32 v4, v4                                       // 00000000C9C8: 7E084104
	v_exp_f32_e32 v5, v5                                       // 00000000C9CC: 7E0A4105
	v_exp_f32_e32 v6, v6                                       // 00000000C9D0: 7E0C4106
	v_exp_f32_e32 v7, v7                                       // 00000000C9D4: 7E0E4107
	v_add_f32_e64 v4, v4, 1.0                                  // 00000000C9D8: D1010004 0001E504
	v_add_f32_e64 v5, v5, 1.0                                  // 00000000C9E0: D1010005 0001E505
	v_add_f32_e64 v6, v6, 1.0                                  // 00000000C9E8: D1010006 0001E506
	v_add_f32_e64 v7, v7, 1.0                                  // 00000000C9F0: D1010007 0001E507
	v_rcp_f32_e32 v4, v4                                       // 00000000C9F8: 7E084504
	v_rcp_f32_e32 v5, v5                                       // 00000000C9FC: 7E0A4505
	v_rcp_f32_e32 v6, v6                                       // 00000000CA00: 7E0C4506
	v_rcp_f32_e32 v7, v7                                       // 00000000CA04: 7E0E4507
	v_mul_f32_e32 v120, v120, v4                               // 00000000CA08: 0AF00978
	v_mul_f32_e32 v121, v121, v5                               // 00000000CA0C: 0AF20B79
	v_mul_f32_e32 v122, v122, v6                               // 00000000CA10: 0AF40D7A
	v_mul_f32_e32 v123, v123, v7                               // 00000000CA14: 0AF60F7B
	v_mul_f32_e32 v120, v120, v216                             // 00000000CA18: 0AF1B178
	v_mul_f32_e32 v121, v121, v217                             // 00000000CA1C: 0AF3B379
	v_mul_f32_e32 v122, v122, v218                             // 00000000CA20: 0AF5B57A
	v_mul_f32_e32 v123, v123, v219                             // 00000000CA24: 0AF7B77B
	v_mul_f32_e64 v4, -v124, s6                                // 00000000CA28: D1050004 20000D7C
	v_mul_f32_e64 v5, -v125, s6                                // 00000000CA30: D1050005 20000D7D
	v_mul_f32_e64 v6, -v126, s6                                // 00000000CA38: D1050006 20000D7E
	v_mul_f32_e64 v7, -v127, s6                                // 00000000CA40: D1050007 20000D7F
	v_exp_f32_e32 v4, v4                                       // 00000000CA48: 7E084104
	v_exp_f32_e32 v5, v5                                       // 00000000CA4C: 7E0A4105
	v_exp_f32_e32 v6, v6                                       // 00000000CA50: 7E0C4106
	v_exp_f32_e32 v7, v7                                       // 00000000CA54: 7E0E4107
	v_add_f32_e64 v4, v4, 1.0                                  // 00000000CA58: D1010004 0001E504
	v_add_f32_e64 v5, v5, 1.0                                  // 00000000CA60: D1010005 0001E505
	v_add_f32_e64 v6, v6, 1.0                                  // 00000000CA68: D1010006 0001E506
	v_add_f32_e64 v7, v7, 1.0                                  // 00000000CA70: D1010007 0001E507
	v_rcp_f32_e32 v4, v4                                       // 00000000CA78: 7E084504
	v_rcp_f32_e32 v5, v5                                       // 00000000CA7C: 7E0A4505
	v_rcp_f32_e32 v6, v6                                       // 00000000CA80: 7E0C4506
	v_rcp_f32_e32 v7, v7                                       // 00000000CA84: 7E0E4507
	v_mul_f32_e32 v124, v124, v4                               // 00000000CA88: 0AF8097C
	v_mul_f32_e32 v125, v125, v5                               // 00000000CA8C: 0AFA0B7D
	v_mul_f32_e32 v126, v126, v6                               // 00000000CA90: 0AFC0D7E
	v_mul_f32_e32 v127, v127, v7                               // 00000000CA94: 0AFE0F7F
	v_mul_f32_e32 v124, v124, v220                             // 00000000CA98: 0AF9B97C
	v_mul_f32_e32 v125, v125, v221                             // 00000000CA9C: 0AFBBB7D
	v_mul_f32_e32 v126, v126, v222                             // 00000000CAA0: 0AFDBD7E
	v_mul_f32_e32 v127, v127, v223                             // 00000000CAA4: 0AFFBF7F
	v_mul_f32_e64 v4, -v128, s6                                // 00000000CAA8: D1050004 20000D80
	v_mul_f32_e64 v5, -v129, s6                                // 00000000CAB0: D1050005 20000D81
	v_mul_f32_e64 v6, -v130, s6                                // 00000000CAB8: D1050006 20000D82
	v_mul_f32_e64 v7, -v131, s6                                // 00000000CAC0: D1050007 20000D83
	v_exp_f32_e32 v4, v4                                       // 00000000CAC8: 7E084104
	v_exp_f32_e32 v5, v5                                       // 00000000CACC: 7E0A4105
	v_exp_f32_e32 v6, v6                                       // 00000000CAD0: 7E0C4106
	v_exp_f32_e32 v7, v7                                       // 00000000CAD4: 7E0E4107
	v_add_f32_e64 v4, v4, 1.0                                  // 00000000CAD8: D1010004 0001E504
	v_add_f32_e64 v5, v5, 1.0                                  // 00000000CAE0: D1010005 0001E505
	v_add_f32_e64 v6, v6, 1.0                                  // 00000000CAE8: D1010006 0001E506
	v_add_f32_e64 v7, v7, 1.0                                  // 00000000CAF0: D1010007 0001E507
	v_rcp_f32_e32 v4, v4                                       // 00000000CAF8: 7E084504
	v_rcp_f32_e32 v5, v5                                       // 00000000CAFC: 7E0A4505
	v_rcp_f32_e32 v6, v6                                       // 00000000CB00: 7E0C4506
	v_rcp_f32_e32 v7, v7                                       // 00000000CB04: 7E0E4507
	v_mul_f32_e32 v128, v128, v4                               // 00000000CB08: 0B000980
	v_mul_f32_e32 v129, v129, v5                               // 00000000CB0C: 0B020B81
	v_mul_f32_e32 v130, v130, v6                               // 00000000CB10: 0B040D82
	v_mul_f32_e32 v131, v131, v7                               // 00000000CB14: 0B060F83
	v_mul_f32_e32 v128, v128, v224                             // 00000000CB18: 0B01C180
	v_mul_f32_e32 v129, v129, v225                             // 00000000CB1C: 0B03C381
	v_mul_f32_e32 v130, v130, v226                             // 00000000CB20: 0B05C582
	v_mul_f32_e32 v131, v131, v227                             // 00000000CB24: 0B07C783
	v_mul_f32_e64 v4, -v132, s6                                // 00000000CB28: D1050004 20000D84
	v_mul_f32_e64 v5, -v133, s6                                // 00000000CB30: D1050005 20000D85
	v_mul_f32_e64 v6, -v134, s6                                // 00000000CB38: D1050006 20000D86
	v_mul_f32_e64 v7, -v135, s6                                // 00000000CB40: D1050007 20000D87
	v_exp_f32_e32 v4, v4                                       // 00000000CB48: 7E084104
	v_exp_f32_e32 v5, v5                                       // 00000000CB4C: 7E0A4105
	v_exp_f32_e32 v6, v6                                       // 00000000CB50: 7E0C4106
	v_exp_f32_e32 v7, v7                                       // 00000000CB54: 7E0E4107
	v_add_f32_e64 v4, v4, 1.0                                  // 00000000CB58: D1010004 0001E504
	v_add_f32_e64 v5, v5, 1.0                                  // 00000000CB60: D1010005 0001E505
	v_add_f32_e64 v6, v6, 1.0                                  // 00000000CB68: D1010006 0001E506
	v_add_f32_e64 v7, v7, 1.0                                  // 00000000CB70: D1010007 0001E507
	v_rcp_f32_e32 v4, v4                                       // 00000000CB78: 7E084504
	v_rcp_f32_e32 v5, v5                                       // 00000000CB7C: 7E0A4505
	v_rcp_f32_e32 v6, v6                                       // 00000000CB80: 7E0C4506
	v_rcp_f32_e32 v7, v7                                       // 00000000CB84: 7E0E4507
	v_mul_f32_e32 v132, v132, v4                               // 00000000CB88: 0B080984
	v_mul_f32_e32 v133, v133, v5                               // 00000000CB8C: 0B0A0B85
	v_mul_f32_e32 v134, v134, v6                               // 00000000CB90: 0B0C0D86
	v_mul_f32_e32 v135, v135, v7                               // 00000000CB94: 0B0E0F87
	v_mul_f32_e32 v132, v132, v228                             // 00000000CB98: 0B09C984
	v_mul_f32_e32 v133, v133, v229                             // 00000000CB9C: 0B0BCB85
	v_mul_f32_e32 v134, v134, v230                             // 00000000CBA0: 0B0DCD86
	v_mul_f32_e32 v135, v135, v231                             // 00000000CBA4: 0B0FCF87
	v_mul_f32_e64 v4, -v136, s6                                // 00000000CBA8: D1050004 20000D88
	v_mul_f32_e64 v5, -v137, s6                                // 00000000CBB0: D1050005 20000D89
	v_mul_f32_e64 v6, -v138, s6                                // 00000000CBB8: D1050006 20000D8A
	v_mul_f32_e64 v7, -v139, s6                                // 00000000CBC0: D1050007 20000D8B
	v_exp_f32_e32 v4, v4                                       // 00000000CBC8: 7E084104
	v_exp_f32_e32 v5, v5                                       // 00000000CBCC: 7E0A4105
	v_exp_f32_e32 v6, v6                                       // 00000000CBD0: 7E0C4106
	v_exp_f32_e32 v7, v7                                       // 00000000CBD4: 7E0E4107
	v_add_f32_e64 v4, v4, 1.0                                  // 00000000CBD8: D1010004 0001E504
	v_add_f32_e64 v5, v5, 1.0                                  // 00000000CBE0: D1010005 0001E505
	v_add_f32_e64 v6, v6, 1.0                                  // 00000000CBE8: D1010006 0001E506
	v_add_f32_e64 v7, v7, 1.0                                  // 00000000CBF0: D1010007 0001E507
	v_rcp_f32_e32 v4, v4                                       // 00000000CBF8: 7E084504
	v_rcp_f32_e32 v5, v5                                       // 00000000CBFC: 7E0A4505
	v_rcp_f32_e32 v6, v6                                       // 00000000CC00: 7E0C4506
	v_rcp_f32_e32 v7, v7                                       // 00000000CC04: 7E0E4507
	v_mul_f32_e32 v136, v136, v4                               // 00000000CC08: 0B100988
	v_mul_f32_e32 v137, v137, v5                               // 00000000CC0C: 0B120B89
	v_mul_f32_e32 v138, v138, v6                               // 00000000CC10: 0B140D8A
	v_mul_f32_e32 v139, v139, v7                               // 00000000CC14: 0B160F8B
	v_mul_f32_e32 v136, v136, v232                             // 00000000CC18: 0B11D188
	v_mul_f32_e32 v137, v137, v233                             // 00000000CC1C: 0B13D389
	v_mul_f32_e32 v138, v138, v234                             // 00000000CC20: 0B15D58A
	v_mul_f32_e32 v139, v139, v235                             // 00000000CC24: 0B17D78B
	v_mul_f32_e64 v4, -v140, s6                                // 00000000CC28: D1050004 20000D8C
	v_mul_f32_e64 v5, -v141, s6                                // 00000000CC30: D1050005 20000D8D
	v_mul_f32_e64 v6, -v142, s6                                // 00000000CC38: D1050006 20000D8E
	v_mul_f32_e64 v7, -v143, s6                                // 00000000CC40: D1050007 20000D8F
	v_exp_f32_e32 v4, v4                                       // 00000000CC48: 7E084104
	v_exp_f32_e32 v5, v5                                       // 00000000CC4C: 7E0A4105
	v_exp_f32_e32 v6, v6                                       // 00000000CC50: 7E0C4106
	v_exp_f32_e32 v7, v7                                       // 00000000CC54: 7E0E4107
	v_add_f32_e64 v4, v4, 1.0                                  // 00000000CC58: D1010004 0001E504
	v_add_f32_e64 v5, v5, 1.0                                  // 00000000CC60: D1010005 0001E505
	v_add_f32_e64 v6, v6, 1.0                                  // 00000000CC68: D1010006 0001E506
	v_add_f32_e64 v7, v7, 1.0                                  // 00000000CC70: D1010007 0001E507
	v_rcp_f32_e32 v4, v4                                       // 00000000CC78: 7E084504
	v_rcp_f32_e32 v5, v5                                       // 00000000CC7C: 7E0A4505
	v_rcp_f32_e32 v6, v6                                       // 00000000CC80: 7E0C4506
	v_rcp_f32_e32 v7, v7                                       // 00000000CC84: 7E0E4507
	v_mul_f32_e32 v140, v140, v4                               // 00000000CC88: 0B18098C
	v_mul_f32_e32 v141, v141, v5                               // 00000000CC8C: 0B1A0B8D
	v_mul_f32_e32 v142, v142, v6                               // 00000000CC90: 0B1C0D8E
	v_mul_f32_e32 v143, v143, v7                               // 00000000CC94: 0B1E0F8F
	v_mul_f32_e32 v140, v140, v236                             // 00000000CC98: 0B19D98C
	v_mul_f32_e32 v141, v141, v237                             // 00000000CC9C: 0B1BDB8D
	v_mul_f32_e32 v142, v142, v238                             // 00000000CCA0: 0B1DDD8E
	v_mul_f32_e32 v143, v143, v239                             // 00000000CCA4: 0B1FDF8F
	v_mul_f32_e64 v4, -v144, s6                                // 00000000CCA8: D1050004 20000D90
	v_mul_f32_e64 v5, -v145, s6                                // 00000000CCB0: D1050005 20000D91
	v_mul_f32_e64 v6, -v146, s6                                // 00000000CCB8: D1050006 20000D92
	v_mul_f32_e64 v7, -v147, s6                                // 00000000CCC0: D1050007 20000D93
	v_exp_f32_e32 v4, v4                                       // 00000000CCC8: 7E084104
	v_exp_f32_e32 v5, v5                                       // 00000000CCCC: 7E0A4105
	v_exp_f32_e32 v6, v6                                       // 00000000CCD0: 7E0C4106
	v_exp_f32_e32 v7, v7                                       // 00000000CCD4: 7E0E4107
	v_add_f32_e64 v4, v4, 1.0                                  // 00000000CCD8: D1010004 0001E504
	v_add_f32_e64 v5, v5, 1.0                                  // 00000000CCE0: D1010005 0001E505
	v_add_f32_e64 v6, v6, 1.0                                  // 00000000CCE8: D1010006 0001E506
	v_add_f32_e64 v7, v7, 1.0                                  // 00000000CCF0: D1010007 0001E507
	v_rcp_f32_e32 v4, v4                                       // 00000000CCF8: 7E084504
	v_rcp_f32_e32 v5, v5                                       // 00000000CCFC: 7E0A4505
	v_rcp_f32_e32 v6, v6                                       // 00000000CD00: 7E0C4506
	v_rcp_f32_e32 v7, v7                                       // 00000000CD04: 7E0E4507
	v_mul_f32_e32 v144, v144, v4                               // 00000000CD08: 0B200990
	v_mul_f32_e32 v145, v145, v5                               // 00000000CD0C: 0B220B91
	v_mul_f32_e32 v146, v146, v6                               // 00000000CD10: 0B240D92
	v_mul_f32_e32 v147, v147, v7                               // 00000000CD14: 0B260F93
	v_mul_f32_e32 v144, v144, v240                             // 00000000CD18: 0B21E190
	v_mul_f32_e32 v145, v145, v241                             // 00000000CD1C: 0B23E391
	v_mul_f32_e32 v146, v146, v242                             // 00000000CD20: 0B25E592
	v_mul_f32_e32 v147, v147, v243                             // 00000000CD24: 0B27E793
	v_mul_f32_e64 v4, -v148, s6                                // 00000000CD28: D1050004 20000D94
	v_mul_f32_e64 v5, -v149, s6                                // 00000000CD30: D1050005 20000D95
	v_mul_f32_e64 v6, -v150, s6                                // 00000000CD38: D1050006 20000D96
	v_mul_f32_e64 v7, -v151, s6                                // 00000000CD40: D1050007 20000D97
	v_exp_f32_e32 v4, v4                                       // 00000000CD48: 7E084104
	v_exp_f32_e32 v5, v5                                       // 00000000CD4C: 7E0A4105
	v_exp_f32_e32 v6, v6                                       // 00000000CD50: 7E0C4106
	v_exp_f32_e32 v7, v7                                       // 00000000CD54: 7E0E4107
	v_add_f32_e64 v4, v4, 1.0                                  // 00000000CD58: D1010004 0001E504
	v_add_f32_e64 v5, v5, 1.0                                  // 00000000CD60: D1010005 0001E505
	v_add_f32_e64 v6, v6, 1.0                                  // 00000000CD68: D1010006 0001E506
	v_add_f32_e64 v7, v7, 1.0                                  // 00000000CD70: D1010007 0001E507
	v_rcp_f32_e32 v4, v4                                       // 00000000CD78: 7E084504
	v_rcp_f32_e32 v5, v5                                       // 00000000CD7C: 7E0A4505
	v_rcp_f32_e32 v6, v6                                       // 00000000CD80: 7E0C4506
	v_rcp_f32_e32 v7, v7                                       // 00000000CD84: 7E0E4507
	v_mul_f32_e32 v148, v148, v4                               // 00000000CD88: 0B280994
	v_mul_f32_e32 v149, v149, v5                               // 00000000CD8C: 0B2A0B95
	v_mul_f32_e32 v150, v150, v6                               // 00000000CD90: 0B2C0D96
	v_mul_f32_e32 v151, v151, v7                               // 00000000CD94: 0B2E0F97
	v_mul_f32_e32 v148, v148, v244                             // 00000000CD98: 0B29E994
	v_mul_f32_e32 v149, v149, v245                             // 00000000CD9C: 0B2BEB95
	v_mul_f32_e32 v150, v150, v246                             // 00000000CDA0: 0B2DED96
	v_mul_f32_e32 v151, v151, v247                             // 00000000CDA4: 0B2FEF97

000000000000cda8 <label_28ED>:
	v_cmp_u_f32_e64 s[46:47], v56, v56                         // 00000000CDA8: D048002E 00027138
	v_add3_u32 v16, v56, v19, 1                                // 00000000CDB0: D1FF0010 02062738
	v_cndmask_b32_e64 v4, v16, v18, s[46:47]                   // 00000000CDB8: D1000004 00BA2510
	v_cmp_u_f32_e64 s[46:47], v57, v57                         // 00000000CDC0: D048002E 00027339
	v_add3_u32 v16, v57, v19, 1                                // 00000000CDC8: D1FF0010 02062739
	v_cndmask_b32_e64 v5, v16, v18, s[46:47]                   // 00000000CDD0: D1000005 00BA2510
	v_perm_b32 v56, v5, v4, s52                                // 00000000CDD8: D1ED0038 00D20905
	v_cmp_u_f32_e64 s[46:47], v58, v58                         // 00000000CDE0: D048002E 0002753A
	v_add3_u32 v16, v58, v19, 1                                // 00000000CDE8: D1FF0010 0206273A
	v_cndmask_b32_e64 v4, v16, v18, s[46:47]                   // 00000000CDF0: D1000004 00BA2510
	v_cmp_u_f32_e64 s[46:47], v59, v59                         // 00000000CDF8: D048002E 0002773B
	v_add3_u32 v16, v59, v19, 1                                // 00000000CE00: D1FF0010 0206273B
	v_cndmask_b32_e64 v5, v16, v18, s[46:47]                   // 00000000CE08: D1000005 00BA2510
	v_perm_b32 v57, v5, v4, s52                                // 00000000CE10: D1ED0039 00D20905
	v_cmp_u_f32_e64 s[46:47], v60, v60                         // 00000000CE18: D048002E 0002793C
	v_add3_u32 v16, v60, v19, 1                                // 00000000CE20: D1FF0010 0206273C
	v_cndmask_b32_e64 v4, v16, v18, s[46:47]                   // 00000000CE28: D1000004 00BA2510
	v_cmp_u_f32_e64 s[46:47], v61, v61                         // 00000000CE30: D048002E 00027B3D
	v_add3_u32 v16, v61, v19, 1                                // 00000000CE38: D1FF0010 0206273D
	v_cndmask_b32_e64 v5, v16, v18, s[46:47]                   // 00000000CE40: D1000005 00BA2510
	v_perm_b32 v58, v5, v4, s52                                // 00000000CE48: D1ED003A 00D20905
	v_cmp_u_f32_e64 s[46:47], v62, v62                         // 00000000CE50: D048002E 00027D3E
	v_add3_u32 v16, v62, v19, 1                                // 00000000CE58: D1FF0010 0206273E
	v_cndmask_b32_e64 v4, v16, v18, s[46:47]                   // 00000000CE60: D1000004 00BA2510
	v_cmp_u_f32_e64 s[46:47], v63, v63                         // 00000000CE68: D048002E 00027F3F
	v_add3_u32 v16, v63, v19, 1                                // 00000000CE70: D1FF0010 0206273F
	v_cndmask_b32_e64 v5, v16, v18, s[46:47]                   // 00000000CE78: D1000005 00BA2510
	v_perm_b32 v59, v5, v4, s52                                // 00000000CE80: D1ED003B 00D20905
	v_cmp_u_f32_e64 s[46:47], v64, v64                         // 00000000CE88: D048002E 00028140
	v_add3_u32 v16, v64, v19, 1                                // 00000000CE90: D1FF0010 02062740
	v_cndmask_b32_e64 v4, v16, v18, s[46:47]                   // 00000000CE98: D1000004 00BA2510
	v_cmp_u_f32_e64 s[46:47], v65, v65                         // 00000000CEA0: D048002E 00028341
	v_add3_u32 v16, v65, v19, 1                                // 00000000CEA8: D1FF0010 02062741
	v_cndmask_b32_e64 v5, v16, v18, s[46:47]                   // 00000000CEB0: D1000005 00BA2510
	v_perm_b32 v60, v5, v4, s52                                // 00000000CEB8: D1ED003C 00D20905
	v_cmp_u_f32_e64 s[46:47], v66, v66                         // 00000000CEC0: D048002E 00028542
	v_add3_u32 v16, v66, v19, 1                                // 00000000CEC8: D1FF0010 02062742
	v_cndmask_b32_e64 v4, v16, v18, s[46:47]                   // 00000000CED0: D1000004 00BA2510
	v_cmp_u_f32_e64 s[46:47], v67, v67                         // 00000000CED8: D048002E 00028743
	v_add3_u32 v16, v67, v19, 1                                // 00000000CEE0: D1FF0010 02062743
	v_cndmask_b32_e64 v5, v16, v18, s[46:47]                   // 00000000CEE8: D1000005 00BA2510
	v_perm_b32 v61, v5, v4, s52                                // 00000000CEF0: D1ED003D 00D20905
	v_cmp_u_f32_e64 s[46:47], v68, v68                         // 00000000CEF8: D048002E 00028944
	v_add3_u32 v16, v68, v19, 1                                // 00000000CF00: D1FF0010 02062744
	v_cndmask_b32_e64 v4, v16, v18, s[46:47]                   // 00000000CF08: D1000004 00BA2510
	v_cmp_u_f32_e64 s[46:47], v69, v69                         // 00000000CF10: D048002E 00028B45
	v_add3_u32 v16, v69, v19, 1                                // 00000000CF18: D1FF0010 02062745
	v_cndmask_b32_e64 v5, v16, v18, s[46:47]                   // 00000000CF20: D1000005 00BA2510
	v_perm_b32 v62, v5, v4, s52                                // 00000000CF28: D1ED003E 00D20905
	v_cmp_u_f32_e64 s[46:47], v70, v70                         // 00000000CF30: D048002E 00028D46
	v_add3_u32 v16, v70, v19, 1                                // 00000000CF38: D1FF0010 02062746
	v_cndmask_b32_e64 v4, v16, v18, s[46:47]                   // 00000000CF40: D1000004 00BA2510
	v_cmp_u_f32_e64 s[46:47], v71, v71                         // 00000000CF48: D048002E 00028F47
	v_add3_u32 v16, v71, v19, 1                                // 00000000CF50: D1FF0010 02062747
	v_cndmask_b32_e64 v5, v16, v18, s[46:47]                   // 00000000CF58: D1000005 00BA2510
	v_perm_b32 v63, v5, v4, s52                                // 00000000CF60: D1ED003F 00D20905
	v_cmp_u_f32_e64 s[46:47], v72, v72                         // 00000000CF68: D048002E 00029148
	v_add3_u32 v16, v72, v19, 1                                // 00000000CF70: D1FF0010 02062748
	v_cndmask_b32_e64 v4, v16, v18, s[46:47]                   // 00000000CF78: D1000004 00BA2510
	v_cmp_u_f32_e64 s[46:47], v73, v73                         // 00000000CF80: D048002E 00029349
	v_add3_u32 v16, v73, v19, 1                                // 00000000CF88: D1FF0010 02062749
	v_cndmask_b32_e64 v5, v16, v18, s[46:47]                   // 00000000CF90: D1000005 00BA2510
	v_perm_b32 v64, v5, v4, s52                                // 00000000CF98: D1ED0040 00D20905
	v_cmp_u_f32_e64 s[46:47], v74, v74                         // 00000000CFA0: D048002E 0002954A
	v_add3_u32 v16, v74, v19, 1                                // 00000000CFA8: D1FF0010 0206274A
	v_cndmask_b32_e64 v4, v16, v18, s[46:47]                   // 00000000CFB0: D1000004 00BA2510
	v_cmp_u_f32_e64 s[46:47], v75, v75                         // 00000000CFB8: D048002E 0002974B
	v_add3_u32 v16, v75, v19, 1                                // 00000000CFC0: D1FF0010 0206274B
	v_cndmask_b32_e64 v5, v16, v18, s[46:47]                   // 00000000CFC8: D1000005 00BA2510
	v_perm_b32 v65, v5, v4, s52                                // 00000000CFD0: D1ED0041 00D20905
	v_cmp_u_f32_e64 s[46:47], v76, v76                         // 00000000CFD8: D048002E 0002994C
	v_add3_u32 v16, v76, v19, 1                                // 00000000CFE0: D1FF0010 0206274C
	v_cndmask_b32_e64 v4, v16, v18, s[46:47]                   // 00000000CFE8: D1000004 00BA2510
	v_cmp_u_f32_e64 s[46:47], v77, v77                         // 00000000CFF0: D048002E 00029B4D
	v_add3_u32 v16, v77, v19, 1                                // 00000000CFF8: D1FF0010 0206274D
	v_cndmask_b32_e64 v5, v16, v18, s[46:47]                   // 00000000D000: D1000005 00BA2510
	v_perm_b32 v66, v5, v4, s52                                // 00000000D008: D1ED0042 00D20905
	v_cmp_u_f32_e64 s[46:47], v78, v78                         // 00000000D010: D048002E 00029D4E
	v_add3_u32 v16, v78, v19, 1                                // 00000000D018: D1FF0010 0206274E
	v_cndmask_b32_e64 v4, v16, v18, s[46:47]                   // 00000000D020: D1000004 00BA2510
	v_cmp_u_f32_e64 s[46:47], v79, v79                         // 00000000D028: D048002E 00029F4F
	v_add3_u32 v16, v79, v19, 1                                // 00000000D030: D1FF0010 0206274F
	v_cndmask_b32_e64 v5, v16, v18, s[46:47]                   // 00000000D038: D1000005 00BA2510
	v_perm_b32 v67, v5, v4, s52                                // 00000000D040: D1ED0043 00D20905
	v_cmp_u_f32_e64 s[46:47], v80, v80                         // 00000000D048: D048002E 0002A150
	v_add3_u32 v16, v80, v19, 1                                // 00000000D050: D1FF0010 02062750
	v_cndmask_b32_e64 v4, v16, v18, s[46:47]                   // 00000000D058: D1000004 00BA2510
	v_cmp_u_f32_e64 s[46:47], v81, v81                         // 00000000D060: D048002E 0002A351
	v_add3_u32 v16, v81, v19, 1                                // 00000000D068: D1FF0010 02062751
	v_cndmask_b32_e64 v5, v16, v18, s[46:47]                   // 00000000D070: D1000005 00BA2510
	v_perm_b32 v68, v5, v4, s52                                // 00000000D078: D1ED0044 00D20905
	v_cmp_u_f32_e64 s[46:47], v82, v82                         // 00000000D080: D048002E 0002A552
	v_add3_u32 v16, v82, v19, 1                                // 00000000D088: D1FF0010 02062752
	v_cndmask_b32_e64 v4, v16, v18, s[46:47]                   // 00000000D090: D1000004 00BA2510
	v_cmp_u_f32_e64 s[46:47], v83, v83                         // 00000000D098: D048002E 0002A753
	v_add3_u32 v16, v83, v19, 1                                // 00000000D0A0: D1FF0010 02062753
	v_cndmask_b32_e64 v5, v16, v18, s[46:47]                   // 00000000D0A8: D1000005 00BA2510
	v_perm_b32 v69, v5, v4, s52                                // 00000000D0B0: D1ED0045 00D20905
	v_cmp_u_f32_e64 s[46:47], v84, v84                         // 00000000D0B8: D048002E 0002A954
	v_add3_u32 v16, v84, v19, 1                                // 00000000D0C0: D1FF0010 02062754
	v_cndmask_b32_e64 v4, v16, v18, s[46:47]                   // 00000000D0C8: D1000004 00BA2510
	v_cmp_u_f32_e64 s[46:47], v85, v85                         // 00000000D0D0: D048002E 0002AB55
	v_add3_u32 v16, v85, v19, 1                                // 00000000D0D8: D1FF0010 02062755
	v_cndmask_b32_e64 v5, v16, v18, s[46:47]                   // 00000000D0E0: D1000005 00BA2510
	v_perm_b32 v70, v5, v4, s52                                // 00000000D0E8: D1ED0046 00D20905
	v_cmp_u_f32_e64 s[46:47], v86, v86                         // 00000000D0F0: D048002E 0002AD56
	v_add3_u32 v16, v86, v19, 1                                // 00000000D0F8: D1FF0010 02062756
	v_cndmask_b32_e64 v4, v16, v18, s[46:47]                   // 00000000D100: D1000004 00BA2510
	v_cmp_u_f32_e64 s[46:47], v87, v87                         // 00000000D108: D048002E 0002AF57
	v_add3_u32 v16, v87, v19, 1                                // 00000000D110: D1FF0010 02062757
	v_cndmask_b32_e64 v5, v16, v18, s[46:47]                   // 00000000D118: D1000005 00BA2510
	v_perm_b32 v71, v5, v4, s52                                // 00000000D120: D1ED0047 00D20905
	v_cmp_u_f32_e64 s[46:47], v88, v88                         // 00000000D128: D048002E 0002B158
	v_add3_u32 v16, v88, v19, 1                                // 00000000D130: D1FF0010 02062758
	v_cndmask_b32_e64 v4, v16, v18, s[46:47]                   // 00000000D138: D1000004 00BA2510
	v_cmp_u_f32_e64 s[46:47], v89, v89                         // 00000000D140: D048002E 0002B359
	v_add3_u32 v16, v89, v19, 1                                // 00000000D148: D1FF0010 02062759
	v_cndmask_b32_e64 v5, v16, v18, s[46:47]                   // 00000000D150: D1000005 00BA2510
	v_perm_b32 v72, v5, v4, s52                                // 00000000D158: D1ED0048 00D20905
	v_cmp_u_f32_e64 s[46:47], v90, v90                         // 00000000D160: D048002E 0002B55A
	v_add3_u32 v16, v90, v19, 1                                // 00000000D168: D1FF0010 0206275A
	v_cndmask_b32_e64 v4, v16, v18, s[46:47]                   // 00000000D170: D1000004 00BA2510
	v_cmp_u_f32_e64 s[46:47], v91, v91                         // 00000000D178: D048002E 0002B75B
	v_add3_u32 v16, v91, v19, 1                                // 00000000D180: D1FF0010 0206275B
	v_cndmask_b32_e64 v5, v16, v18, s[46:47]                   // 00000000D188: D1000005 00BA2510
	v_perm_b32 v73, v5, v4, s52                                // 00000000D190: D1ED0049 00D20905
	v_cmp_u_f32_e64 s[46:47], v92, v92                         // 00000000D198: D048002E 0002B95C
	v_add3_u32 v16, v92, v19, 1                                // 00000000D1A0: D1FF0010 0206275C
	v_cndmask_b32_e64 v4, v16, v18, s[46:47]                   // 00000000D1A8: D1000004 00BA2510
	v_cmp_u_f32_e64 s[46:47], v93, v93                         // 00000000D1B0: D048002E 0002BB5D
	v_add3_u32 v16, v93, v19, 1                                // 00000000D1B8: D1FF0010 0206275D
	v_cndmask_b32_e64 v5, v16, v18, s[46:47]                   // 00000000D1C0: D1000005 00BA2510
	v_perm_b32 v74, v5, v4, s52                                // 00000000D1C8: D1ED004A 00D20905
	v_cmp_u_f32_e64 s[46:47], v94, v94                         // 00000000D1D0: D048002E 0002BD5E
	v_add3_u32 v16, v94, v19, 1                                // 00000000D1D8: D1FF0010 0206275E
	v_cndmask_b32_e64 v4, v16, v18, s[46:47]                   // 00000000D1E0: D1000004 00BA2510
	v_cmp_u_f32_e64 s[46:47], v95, v95                         // 00000000D1E8: D048002E 0002BF5F
	v_add3_u32 v16, v95, v19, 1                                // 00000000D1F0: D1FF0010 0206275F
	v_cndmask_b32_e64 v5, v16, v18, s[46:47]                   // 00000000D1F8: D1000005 00BA2510
	v_perm_b32 v75, v5, v4, s52                                // 00000000D200: D1ED004B 00D20905
	v_cmp_u_f32_e64 s[46:47], v96, v96                         // 00000000D208: D048002E 0002C160
	v_add3_u32 v16, v96, v19, 1                                // 00000000D210: D1FF0010 02062760
	v_cndmask_b32_e64 v4, v16, v18, s[46:47]                   // 00000000D218: D1000004 00BA2510
	v_cmp_u_f32_e64 s[46:47], v97, v97                         // 00000000D220: D048002E 0002C361
	v_add3_u32 v16, v97, v19, 1                                // 00000000D228: D1FF0010 02062761
	v_cndmask_b32_e64 v5, v16, v18, s[46:47]                   // 00000000D230: D1000005 00BA2510
	v_perm_b32 v76, v5, v4, s52                                // 00000000D238: D1ED004C 00D20905
	v_cmp_u_f32_e64 s[46:47], v98, v98                         // 00000000D240: D048002E 0002C562
	v_add3_u32 v16, v98, v19, 1                                // 00000000D248: D1FF0010 02062762
	v_cndmask_b32_e64 v4, v16, v18, s[46:47]                   // 00000000D250: D1000004 00BA2510
	v_cmp_u_f32_e64 s[46:47], v99, v99                         // 00000000D258: D048002E 0002C763
	v_add3_u32 v16, v99, v19, 1                                // 00000000D260: D1FF0010 02062763
	v_cndmask_b32_e64 v5, v16, v18, s[46:47]                   // 00000000D268: D1000005 00BA2510
	v_perm_b32 v77, v5, v4, s52                                // 00000000D270: D1ED004D 00D20905
	v_cmp_u_f32_e64 s[46:47], v100, v100                       // 00000000D278: D048002E 0002C964
	v_add3_u32 v16, v100, v19, 1                               // 00000000D280: D1FF0010 02062764
	v_cndmask_b32_e64 v4, v16, v18, s[46:47]                   // 00000000D288: D1000004 00BA2510
	v_cmp_u_f32_e64 s[46:47], v101, v101                       // 00000000D290: D048002E 0002CB65
	v_add3_u32 v16, v101, v19, 1                               // 00000000D298: D1FF0010 02062765
	v_cndmask_b32_e64 v5, v16, v18, s[46:47]                   // 00000000D2A0: D1000005 00BA2510
	v_perm_b32 v78, v5, v4, s52                                // 00000000D2A8: D1ED004E 00D20905
	v_cmp_u_f32_e64 s[46:47], v102, v102                       // 00000000D2B0: D048002E 0002CD66
	v_add3_u32 v16, v102, v19, 1                               // 00000000D2B8: D1FF0010 02062766
	v_cndmask_b32_e64 v4, v16, v18, s[46:47]                   // 00000000D2C0: D1000004 00BA2510
	v_cmp_u_f32_e64 s[46:47], v103, v103                       // 00000000D2C8: D048002E 0002CF67
	v_add3_u32 v16, v103, v19, 1                               // 00000000D2D0: D1FF0010 02062767
	v_cndmask_b32_e64 v5, v16, v18, s[46:47]                   // 00000000D2D8: D1000005 00BA2510
	v_perm_b32 v79, v5, v4, s52                                // 00000000D2E0: D1ED004F 00D20905
	v_cmp_u_f32_e64 s[46:47], v104, v104                       // 00000000D2E8: D048002E 0002D168
	v_add3_u32 v16, v104, v19, 1                               // 00000000D2F0: D1FF0010 02062768
	v_cndmask_b32_e64 v4, v16, v18, s[46:47]                   // 00000000D2F8: D1000004 00BA2510
	v_cmp_u_f32_e64 s[46:47], v105, v105                       // 00000000D300: D048002E 0002D369
	v_add3_u32 v16, v105, v19, 1                               // 00000000D308: D1FF0010 02062769
	v_cndmask_b32_e64 v5, v16, v18, s[46:47]                   // 00000000D310: D1000005 00BA2510
	v_perm_b32 v80, v5, v4, s52                                // 00000000D318: D1ED0050 00D20905
	v_cmp_u_f32_e64 s[46:47], v106, v106                       // 00000000D320: D048002E 0002D56A
	v_add3_u32 v16, v106, v19, 1                               // 00000000D328: D1FF0010 0206276A
	v_cndmask_b32_e64 v4, v16, v18, s[46:47]                   // 00000000D330: D1000004 00BA2510
	v_cmp_u_f32_e64 s[46:47], v107, v107                       // 00000000D338: D048002E 0002D76B
	v_add3_u32 v16, v107, v19, 1                               // 00000000D340: D1FF0010 0206276B
	v_cndmask_b32_e64 v5, v16, v18, s[46:47]                   // 00000000D348: D1000005 00BA2510
	v_perm_b32 v81, v5, v4, s52                                // 00000000D350: D1ED0051 00D20905
	v_cmp_u_f32_e64 s[46:47], v108, v108                       // 00000000D358: D048002E 0002D96C
	v_add3_u32 v16, v108, v19, 1                               // 00000000D360: D1FF0010 0206276C
	v_cndmask_b32_e64 v4, v16, v18, s[46:47]                   // 00000000D368: D1000004 00BA2510
	v_cmp_u_f32_e64 s[46:47], v109, v109                       // 00000000D370: D048002E 0002DB6D
	v_add3_u32 v16, v109, v19, 1                               // 00000000D378: D1FF0010 0206276D
	v_cndmask_b32_e64 v5, v16, v18, s[46:47]                   // 00000000D380: D1000005 00BA2510
	v_perm_b32 v82, v5, v4, s52                                // 00000000D388: D1ED0052 00D20905
	v_cmp_u_f32_e64 s[46:47], v110, v110                       // 00000000D390: D048002E 0002DD6E
	v_add3_u32 v16, v110, v19, 1                               // 00000000D398: D1FF0010 0206276E
	v_cndmask_b32_e64 v4, v16, v18, s[46:47]                   // 00000000D3A0: D1000004 00BA2510
	v_cmp_u_f32_e64 s[46:47], v111, v111                       // 00000000D3A8: D048002E 0002DF6F
	v_add3_u32 v16, v111, v19, 1                               // 00000000D3B0: D1FF0010 0206276F
	v_cndmask_b32_e64 v5, v16, v18, s[46:47]                   // 00000000D3B8: D1000005 00BA2510
	v_perm_b32 v83, v5, v4, s52                                // 00000000D3C0: D1ED0053 00D20905
	v_cmp_u_f32_e64 s[46:47], v112, v112                       // 00000000D3C8: D048002E 0002E170
	v_add3_u32 v16, v112, v19, 1                               // 00000000D3D0: D1FF0010 02062770
	v_cndmask_b32_e64 v4, v16, v18, s[46:47]                   // 00000000D3D8: D1000004 00BA2510
	v_cmp_u_f32_e64 s[46:47], v113, v113                       // 00000000D3E0: D048002E 0002E371
	v_add3_u32 v16, v113, v19, 1                               // 00000000D3E8: D1FF0010 02062771
	v_cndmask_b32_e64 v5, v16, v18, s[46:47]                   // 00000000D3F0: D1000005 00BA2510
	v_perm_b32 v84, v5, v4, s52                                // 00000000D3F8: D1ED0054 00D20905
	v_cmp_u_f32_e64 s[46:47], v114, v114                       // 00000000D400: D048002E 0002E572
	v_add3_u32 v16, v114, v19, 1                               // 00000000D408: D1FF0010 02062772
	v_cndmask_b32_e64 v4, v16, v18, s[46:47]                   // 00000000D410: D1000004 00BA2510
	v_cmp_u_f32_e64 s[46:47], v115, v115                       // 00000000D418: D048002E 0002E773
	v_add3_u32 v16, v115, v19, 1                               // 00000000D420: D1FF0010 02062773
	v_cndmask_b32_e64 v5, v16, v18, s[46:47]                   // 00000000D428: D1000005 00BA2510
	v_perm_b32 v85, v5, v4, s52                                // 00000000D430: D1ED0055 00D20905
	v_cmp_u_f32_e64 s[46:47], v116, v116                       // 00000000D438: D048002E 0002E974
	v_add3_u32 v16, v116, v19, 1                               // 00000000D440: D1FF0010 02062774
	v_cndmask_b32_e64 v4, v16, v18, s[46:47]                   // 00000000D448: D1000004 00BA2510
	v_cmp_u_f32_e64 s[46:47], v117, v117                       // 00000000D450: D048002E 0002EB75
	v_add3_u32 v16, v117, v19, 1                               // 00000000D458: D1FF0010 02062775
	v_cndmask_b32_e64 v5, v16, v18, s[46:47]                   // 00000000D460: D1000005 00BA2510
	v_perm_b32 v86, v5, v4, s52                                // 00000000D468: D1ED0056 00D20905
	v_cmp_u_f32_e64 s[46:47], v118, v118                       // 00000000D470: D048002E 0002ED76
	v_add3_u32 v16, v118, v19, 1                               // 00000000D478: D1FF0010 02062776
	v_cndmask_b32_e64 v4, v16, v18, s[46:47]                   // 00000000D480: D1000004 00BA2510
	v_cmp_u_f32_e64 s[46:47], v119, v119                       // 00000000D488: D048002E 0002EF77
	v_add3_u32 v16, v119, v19, 1                               // 00000000D490: D1FF0010 02062777
	v_cndmask_b32_e64 v5, v16, v18, s[46:47]                   // 00000000D498: D1000005 00BA2510
	v_perm_b32 v87, v5, v4, s52                                // 00000000D4A0: D1ED0057 00D20905
	v_cmp_u_f32_e64 s[46:47], v120, v120                       // 00000000D4A8: D048002E 0002F178
	v_add3_u32 v16, v120, v19, 1                               // 00000000D4B0: D1FF0010 02062778
	v_cndmask_b32_e64 v4, v16, v18, s[46:47]                   // 00000000D4B8: D1000004 00BA2510
	v_cmp_u_f32_e64 s[46:47], v121, v121                       // 00000000D4C0: D048002E 0002F379
	v_add3_u32 v16, v121, v19, 1                               // 00000000D4C8: D1FF0010 02062779
	v_cndmask_b32_e64 v5, v16, v18, s[46:47]                   // 00000000D4D0: D1000005 00BA2510
	v_perm_b32 v88, v5, v4, s52                                // 00000000D4D8: D1ED0058 00D20905
	v_cmp_u_f32_e64 s[46:47], v122, v122                       // 00000000D4E0: D048002E 0002F57A
	v_add3_u32 v16, v122, v19, 1                               // 00000000D4E8: D1FF0010 0206277A
	v_cndmask_b32_e64 v4, v16, v18, s[46:47]                   // 00000000D4F0: D1000004 00BA2510
	v_cmp_u_f32_e64 s[46:47], v123, v123                       // 00000000D4F8: D048002E 0002F77B
	v_add3_u32 v16, v123, v19, 1                               // 00000000D500: D1FF0010 0206277B
	v_cndmask_b32_e64 v5, v16, v18, s[46:47]                   // 00000000D508: D1000005 00BA2510
	v_perm_b32 v89, v5, v4, s52                                // 00000000D510: D1ED0059 00D20905
	v_cmp_u_f32_e64 s[46:47], v124, v124                       // 00000000D518: D048002E 0002F97C
	v_add3_u32 v16, v124, v19, 1                               // 00000000D520: D1FF0010 0206277C
	v_cndmask_b32_e64 v4, v16, v18, s[46:47]                   // 00000000D528: D1000004 00BA2510
	v_cmp_u_f32_e64 s[46:47], v125, v125                       // 00000000D530: D048002E 0002FB7D
	v_add3_u32 v16, v125, v19, 1                               // 00000000D538: D1FF0010 0206277D
	v_cndmask_b32_e64 v5, v16, v18, s[46:47]                   // 00000000D540: D1000005 00BA2510
	v_perm_b32 v90, v5, v4, s52                                // 00000000D548: D1ED005A 00D20905
	v_cmp_u_f32_e64 s[46:47], v126, v126                       // 00000000D550: D048002E 0002FD7E
	v_add3_u32 v16, v126, v19, 1                               // 00000000D558: D1FF0010 0206277E
	v_cndmask_b32_e64 v4, v16, v18, s[46:47]                   // 00000000D560: D1000004 00BA2510
	v_cmp_u_f32_e64 s[46:47], v127, v127                       // 00000000D568: D048002E 0002FF7F
	v_add3_u32 v16, v127, v19, 1                               // 00000000D570: D1FF0010 0206277F
	v_cndmask_b32_e64 v5, v16, v18, s[46:47]                   // 00000000D578: D1000005 00BA2510
	v_perm_b32 v91, v5, v4, s52                                // 00000000D580: D1ED005B 00D20905
	v_cmp_u_f32_e64 s[46:47], v128, v128                       // 00000000D588: D048002E 00030180
	v_add3_u32 v16, v128, v19, 1                               // 00000000D590: D1FF0010 02062780
	v_cndmask_b32_e64 v4, v16, v18, s[46:47]                   // 00000000D598: D1000004 00BA2510
	v_cmp_u_f32_e64 s[46:47], v129, v129                       // 00000000D5A0: D048002E 00030381
	v_add3_u32 v16, v129, v19, 1                               // 00000000D5A8: D1FF0010 02062781
	v_cndmask_b32_e64 v5, v16, v18, s[46:47]                   // 00000000D5B0: D1000005 00BA2510
	v_perm_b32 v92, v5, v4, s52                                // 00000000D5B8: D1ED005C 00D20905
	v_cmp_u_f32_e64 s[46:47], v130, v130                       // 00000000D5C0: D048002E 00030582
	v_add3_u32 v16, v130, v19, 1                               // 00000000D5C8: D1FF0010 02062782
	v_cndmask_b32_e64 v4, v16, v18, s[46:47]                   // 00000000D5D0: D1000004 00BA2510
	v_cmp_u_f32_e64 s[46:47], v131, v131                       // 00000000D5D8: D048002E 00030783
	v_add3_u32 v16, v131, v19, 1                               // 00000000D5E0: D1FF0010 02062783
	v_cndmask_b32_e64 v5, v16, v18, s[46:47]                   // 00000000D5E8: D1000005 00BA2510
	v_perm_b32 v93, v5, v4, s52                                // 00000000D5F0: D1ED005D 00D20905
	v_cmp_u_f32_e64 s[46:47], v132, v132                       // 00000000D5F8: D048002E 00030984
	v_add3_u32 v16, v132, v19, 1                               // 00000000D600: D1FF0010 02062784
	v_cndmask_b32_e64 v4, v16, v18, s[46:47]                   // 00000000D608: D1000004 00BA2510
	v_cmp_u_f32_e64 s[46:47], v133, v133                       // 00000000D610: D048002E 00030B85
	v_add3_u32 v16, v133, v19, 1                               // 00000000D618: D1FF0010 02062785
	v_cndmask_b32_e64 v5, v16, v18, s[46:47]                   // 00000000D620: D1000005 00BA2510
	v_perm_b32 v94, v5, v4, s52                                // 00000000D628: D1ED005E 00D20905
	v_cmp_u_f32_e64 s[46:47], v134, v134                       // 00000000D630: D048002E 00030D86
	v_add3_u32 v16, v134, v19, 1                               // 00000000D638: D1FF0010 02062786
	v_cndmask_b32_e64 v4, v16, v18, s[46:47]                   // 00000000D640: D1000004 00BA2510
	v_cmp_u_f32_e64 s[46:47], v135, v135                       // 00000000D648: D048002E 00030F87
	v_add3_u32 v16, v135, v19, 1                               // 00000000D650: D1FF0010 02062787
	v_cndmask_b32_e64 v5, v16, v18, s[46:47]                   // 00000000D658: D1000005 00BA2510
	v_perm_b32 v95, v5, v4, s52                                // 00000000D660: D1ED005F 00D20905
	v_cmp_u_f32_e64 s[46:47], v136, v136                       // 00000000D668: D048002E 00031188
	v_add3_u32 v16, v136, v19, 1                               // 00000000D670: D1FF0010 02062788
	v_cndmask_b32_e64 v4, v16, v18, s[46:47]                   // 00000000D678: D1000004 00BA2510
	v_cmp_u_f32_e64 s[46:47], v137, v137                       // 00000000D680: D048002E 00031389
	v_add3_u32 v16, v137, v19, 1                               // 00000000D688: D1FF0010 02062789
	v_cndmask_b32_e64 v5, v16, v18, s[46:47]                   // 00000000D690: D1000005 00BA2510
	v_perm_b32 v96, v5, v4, s52                                // 00000000D698: D1ED0060 00D20905
	v_cmp_u_f32_e64 s[46:47], v138, v138                       // 00000000D6A0: D048002E 0003158A
	v_add3_u32 v16, v138, v19, 1                               // 00000000D6A8: D1FF0010 0206278A
	v_cndmask_b32_e64 v4, v16, v18, s[46:47]                   // 00000000D6B0: D1000004 00BA2510
	v_cmp_u_f32_e64 s[46:47], v139, v139                       // 00000000D6B8: D048002E 0003178B
	v_add3_u32 v16, v139, v19, 1                               // 00000000D6C0: D1FF0010 0206278B
	v_cndmask_b32_e64 v5, v16, v18, s[46:47]                   // 00000000D6C8: D1000005 00BA2510
	v_perm_b32 v97, v5, v4, s52                                // 00000000D6D0: D1ED0061 00D20905
	v_cmp_u_f32_e64 s[46:47], v140, v140                       // 00000000D6D8: D048002E 0003198C
	v_add3_u32 v16, v140, v19, 1                               // 00000000D6E0: D1FF0010 0206278C
	v_cndmask_b32_e64 v4, v16, v18, s[46:47]                   // 00000000D6E8: D1000004 00BA2510
	v_cmp_u_f32_e64 s[46:47], v141, v141                       // 00000000D6F0: D048002E 00031B8D
	v_add3_u32 v16, v141, v19, 1                               // 00000000D6F8: D1FF0010 0206278D
	v_cndmask_b32_e64 v5, v16, v18, s[46:47]                   // 00000000D700: D1000005 00BA2510
	v_perm_b32 v98, v5, v4, s52                                // 00000000D708: D1ED0062 00D20905
	v_cmp_u_f32_e64 s[46:47], v142, v142                       // 00000000D710: D048002E 00031D8E
	v_add3_u32 v16, v142, v19, 1                               // 00000000D718: D1FF0010 0206278E
	v_cndmask_b32_e64 v4, v16, v18, s[46:47]                   // 00000000D720: D1000004 00BA2510
	v_cmp_u_f32_e64 s[46:47], v143, v143                       // 00000000D728: D048002E 00031F8F
	v_add3_u32 v16, v143, v19, 1                               // 00000000D730: D1FF0010 0206278F
	v_cndmask_b32_e64 v5, v16, v18, s[46:47]                   // 00000000D738: D1000005 00BA2510
	v_perm_b32 v99, v5, v4, s52                                // 00000000D740: D1ED0063 00D20905
	v_cmp_u_f32_e64 s[46:47], v144, v144                       // 00000000D748: D048002E 00032190
	v_add3_u32 v16, v144, v19, 1                               // 00000000D750: D1FF0010 02062790
	v_cndmask_b32_e64 v4, v16, v18, s[46:47]                   // 00000000D758: D1000004 00BA2510
	v_cmp_u_f32_e64 s[46:47], v145, v145                       // 00000000D760: D048002E 00032391
	v_add3_u32 v16, v145, v19, 1                               // 00000000D768: D1FF0010 02062791
	v_cndmask_b32_e64 v5, v16, v18, s[46:47]                   // 00000000D770: D1000005 00BA2510
	v_perm_b32 v100, v5, v4, s52                               // 00000000D778: D1ED0064 00D20905
	v_cmp_u_f32_e64 s[46:47], v146, v146                       // 00000000D780: D048002E 00032592
	v_add3_u32 v16, v146, v19, 1                               // 00000000D788: D1FF0010 02062792
	v_cndmask_b32_e64 v4, v16, v18, s[46:47]                   // 00000000D790: D1000004 00BA2510
	v_cmp_u_f32_e64 s[46:47], v147, v147                       // 00000000D798: D048002E 00032793
	v_add3_u32 v16, v147, v19, 1                               // 00000000D7A0: D1FF0010 02062793
	v_cndmask_b32_e64 v5, v16, v18, s[46:47]                   // 00000000D7A8: D1000005 00BA2510
	v_perm_b32 v101, v5, v4, s52                               // 00000000D7B0: D1ED0065 00D20905
	v_cmp_u_f32_e64 s[46:47], v148, v148                       // 00000000D7B8: D048002E 00032994
	v_add3_u32 v16, v148, v19, 1                               // 00000000D7C0: D1FF0010 02062794
	v_cndmask_b32_e64 v4, v16, v18, s[46:47]                   // 00000000D7C8: D1000004 00BA2510
	v_cmp_u_f32_e64 s[46:47], v149, v149                       // 00000000D7D0: D048002E 00032B95
	v_add3_u32 v16, v149, v19, 1                               // 00000000D7D8: D1FF0010 02062795
	v_cndmask_b32_e64 v5, v16, v18, s[46:47]                   // 00000000D7E0: D1000005 00BA2510
	v_perm_b32 v102, v5, v4, s52                               // 00000000D7E8: D1ED0066 00D20905
	v_cmp_u_f32_e64 s[46:47], v150, v150                       // 00000000D7F0: D048002E 00032D96
	v_add3_u32 v16, v150, v19, 1                               // 00000000D7F8: D1FF0010 02062796
	v_cndmask_b32_e64 v4, v16, v18, s[46:47]                   // 00000000D800: D1000004 00BA2510
	v_cmp_u_f32_e64 s[46:47], v151, v151                       // 00000000D808: D048002E 00032F97
	v_add3_u32 v16, v151, v19, 1                               // 00000000D810: D1FF0010 02062797
	v_cndmask_b32_e64 v5, v16, v18, s[46:47]                   // 00000000D818: D1000005 00BA2510
	v_perm_b32 v103, v5, v4, s52                               // 00000000D820: D1ED0067 00D20905
	ds_write_b64 v20, v[56:57]                                 // 00000000D828: D89A0000 00003814
	ds_write_b64 v20, v[58:59] offset:17408                    // 00000000D830: D89A4400 00003A14
	ds_write_b64 v20, v[60:61] offset:34816                    // 00000000D838: D89A8800 00003C14
	ds_write_b64 v20, v[62:63] offset:2176                     // 00000000D840: D89A0880 00003E14
	ds_write_b64 v20, v[64:65] offset:19584                    // 00000000D848: D89A4C80 00004014
	ds_write_b64 v20, v[66:67] offset:36992                    // 00000000D850: D89A9080 00004214
	ds_write_b64 v20, v[68:69] offset:4352                     // 00000000D858: D89A1100 00004414
	ds_write_b64 v20, v[70:71] offset:21760                    // 00000000D860: D89A5500 00004614
	ds_write_b64 v20, v[72:73] offset:39168                    // 00000000D868: D89A9900 00004814
	ds_write_b64 v20, v[74:75] offset:6528                     // 00000000D870: D89A1980 00004A14
	ds_write_b64 v20, v[76:77] offset:23936                    // 00000000D878: D89A5D80 00004C14
	ds_write_b64 v20, v[78:79] offset:41344                    // 00000000D880: D89AA180 00004E14
	ds_write_b64 v20, v[80:81] offset:8704                     // 00000000D888: D89A2200 00005014
	ds_write_b64 v20, v[82:83] offset:26112                    // 00000000D890: D89A6600 00005214
	ds_write_b64 v20, v[84:85] offset:43520                    // 00000000D898: D89AAA00 00005414
	ds_write_b64 v20, v[86:87] offset:10880                    // 00000000D8A0: D89A2A80 00005614
	ds_write_b64 v20, v[88:89] offset:28288                    // 00000000D8A8: D89A6E80 00005814
	ds_write_b64 v20, v[90:91] offset:45696                    // 00000000D8B0: D89AB280 00005A14
	ds_write_b64 v20, v[92:93] offset:13056                    // 00000000D8B8: D89A3300 00005C14
	ds_write_b64 v20, v[94:95] offset:30464                    // 00000000D8C0: D89A7700 00005E14
	ds_write_b64 v20, v[96:97] offset:47872                    // 00000000D8C8: D89ABB00 00006014
	ds_write_b64 v20, v[98:99] offset:15232                    // 00000000D8D0: D89A3B80 00006214
	ds_write_b64 v20, v[100:101] offset:32640                  // 00000000D8D8: D89A7F80 00006414
	ds_write_b64 v20, v[102:103] offset:50048                  // 00000000D8E0: D89AC380 00006614
	v_lshrrev_b32_e32 v4, 5, v0                                // 00000000D8E8: 20080085
	v_xor_b32_e32 v5, 1, v4                                    // 00000000D8EC: 2A0A0881
	s_mul_i32 s60, s65, 2                                      // 00000000D8F0: 923C8241
	s_cmp_eq_u32 s88, 0                                        // 00000000D8F4: BF068058
	s_cselect_b32 s61, 1, 4                                    // 00000000D8F8: 853D8481
	s_mul_i32 s60, s61, s60                                    // 00000000D8FC: 923C3C3D
	v_readlane_b32 s82, v3, 0                                  // 00000000D900: D2890052 00010103
	s_lshr_b32 s61, s82, 24                                    // 00000000D908: 8F3D9852
	s_and_b32 s82, s82, 0xffffff                               // 00000000D90C: 8652FF52 00FFFFFF
	s_mul_i32 s82, s82, s71                                    // 00000000D914: 92524752
	s_mul_i32 s61, s60, s61                                    // 00000000D918: 923D3D3C
	s_add_u32 s82, s82, s61                                    // 00000000D91C: 80523D52
	v_mul_lo_u32 v6, v5, s82                                   // 00000000D920: D2850006 0000A505
	v_readlane_b32 s82, v3, 1                                  // 00000000D928: D2890052 00010303
	s_lshr_b32 s61, s82, 24                                    // 00000000D930: 8F3D9852
	s_and_b32 s82, s82, 0xffffff                               // 00000000D934: 8652FF52 00FFFFFF
	s_mul_i32 s82, s82, s71                                    // 00000000D93C: 92524752
	s_mul_i32 s61, s60, s61                                    // 00000000D940: 923D3D3C
	s_add_u32 s82, s82, s61                                    // 00000000D944: 80523D52
	v_mul_lo_u32 v7, v4, s82                                   // 00000000D948: D2850007 0000A504
	v_add_u32_e32 v41, v6, v7                                  // 00000000D950: 68520F06
	v_readlane_b32 s82, v3, 2                                  // 00000000D954: D2890052 00010503
	s_lshr_b32 s61, s82, 24                                    // 00000000D95C: 8F3D9852
	s_and_b32 s82, s82, 0xffffff                               // 00000000D960: 8652FF52 00FFFFFF
	s_mul_i32 s82, s82, s71                                    // 00000000D968: 92524752
	s_mul_i32 s61, s60, s61                                    // 00000000D96C: 923D3D3C
	s_add_u32 s82, s82, s61                                    // 00000000D970: 80523D52
	v_mul_lo_u32 v6, v5, s82                                   // 00000000D974: D2850006 0000A505
	v_readlane_b32 s82, v3, 3                                  // 00000000D97C: D2890052 00010703
	s_lshr_b32 s61, s82, 24                                    // 00000000D984: 8F3D9852
	s_and_b32 s82, s82, 0xffffff                               // 00000000D988: 8652FF52 00FFFFFF
	s_mul_i32 s82, s82, s71                                    // 00000000D990: 92524752
	s_mul_i32 s61, s60, s61                                    // 00000000D994: 923D3D3C
	s_add_u32 s82, s82, s61                                    // 00000000D998: 80523D52
	v_mul_lo_u32 v7, v4, s82                                   // 00000000D99C: D2850007 0000A504
	v_add_u32_e32 v42, v6, v7                                  // 00000000D9A4: 68540F06
	v_readlane_b32 s82, v3, 4                                  // 00000000D9A8: D2890052 00010903
	s_lshr_b32 s61, s82, 24                                    // 00000000D9B0: 8F3D9852
	s_and_b32 s82, s82, 0xffffff                               // 00000000D9B4: 8652FF52 00FFFFFF
	s_mul_i32 s82, s82, s71                                    // 00000000D9BC: 92524752
	s_mul_i32 s61, s60, s61                                    // 00000000D9C0: 923D3D3C
	s_add_u32 s82, s82, s61                                    // 00000000D9C4: 80523D52
	v_mul_lo_u32 v6, v5, s82                                   // 00000000D9C8: D2850006 0000A505
	v_readlane_b32 s82, v3, 5                                  // 00000000D9D0: D2890052 00010B03
	s_lshr_b32 s61, s82, 24                                    // 00000000D9D8: 8F3D9852
	s_and_b32 s82, s82, 0xffffff                               // 00000000D9DC: 8652FF52 00FFFFFF
	s_mul_i32 s82, s82, s71                                    // 00000000D9E4: 92524752
	s_mul_i32 s61, s60, s61                                    // 00000000D9E8: 923D3D3C
	s_add_u32 s82, s82, s61                                    // 00000000D9EC: 80523D52
	v_mul_lo_u32 v7, v4, s82                                   // 00000000D9F0: D2850007 0000A504
	v_add_u32_e32 v43, v6, v7                                  // 00000000D9F8: 68560F06
	v_readlane_b32 s82, v3, 6                                  // 00000000D9FC: D2890052 00010D03
	s_lshr_b32 s61, s82, 24                                    // 00000000DA04: 8F3D9852
	s_and_b32 s82, s82, 0xffffff                               // 00000000DA08: 8652FF52 00FFFFFF
	s_mul_i32 s82, s82, s71                                    // 00000000DA10: 92524752
	s_mul_i32 s61, s60, s61                                    // 00000000DA14: 923D3D3C
	s_add_u32 s82, s82, s61                                    // 00000000DA18: 80523D52
	v_mul_lo_u32 v6, v5, s82                                   // 00000000DA1C: D2850006 0000A505
	v_readlane_b32 s82, v3, 7                                  // 00000000DA24: D2890052 00010F03
	s_lshr_b32 s61, s82, 24                                    // 00000000DA2C: 8F3D9852
	s_and_b32 s82, s82, 0xffffff                               // 00000000DA30: 8652FF52 00FFFFFF
	s_mul_i32 s82, s82, s71                                    // 00000000DA38: 92524752
	s_mul_i32 s61, s60, s61                                    // 00000000DA3C: 923D3D3C
	s_add_u32 s82, s82, s61                                    // 00000000DA40: 80523D52
	v_mul_lo_u32 v7, v4, s82                                   // 00000000DA44: D2850007 0000A504
	v_add_u32_e32 v44, v6, v7                                  // 00000000DA4C: 68580F06
	v_readlane_b32 s82, v3, 8                                  // 00000000DA50: D2890052 00011103
	s_lshr_b32 s61, s82, 24                                    // 00000000DA58: 8F3D9852
	s_and_b32 s82, s82, 0xffffff                               // 00000000DA5C: 8652FF52 00FFFFFF
	s_mul_i32 s82, s82, s71                                    // 00000000DA64: 92524752
	s_mul_i32 s61, s60, s61                                    // 00000000DA68: 923D3D3C
	s_add_u32 s82, s82, s61                                    // 00000000DA6C: 80523D52
	v_mul_lo_u32 v6, v5, s82                                   // 00000000DA70: D2850006 0000A505
	v_readlane_b32 s82, v3, 9                                  // 00000000DA78: D2890052 00011303
	s_lshr_b32 s61, s82, 24                                    // 00000000DA80: 8F3D9852
	s_and_b32 s82, s82, 0xffffff                               // 00000000DA84: 8652FF52 00FFFFFF
	s_mul_i32 s82, s82, s71                                    // 00000000DA8C: 92524752
	s_mul_i32 s61, s60, s61                                    // 00000000DA90: 923D3D3C
	s_add_u32 s82, s82, s61                                    // 00000000DA94: 80523D52
	v_mul_lo_u32 v7, v4, s82                                   // 00000000DA98: D2850007 0000A504
	v_add_u32_e32 v45, v6, v7                                  // 00000000DAA0: 685A0F06
	v_readlane_b32 s82, v3, 10                                 // 00000000DAA4: D2890052 00011503
	s_lshr_b32 s61, s82, 24                                    // 00000000DAAC: 8F3D9852
	s_and_b32 s82, s82, 0xffffff                               // 00000000DAB0: 8652FF52 00FFFFFF
	s_mul_i32 s82, s82, s71                                    // 00000000DAB8: 92524752
	s_mul_i32 s61, s60, s61                                    // 00000000DABC: 923D3D3C
	s_add_u32 s82, s82, s61                                    // 00000000DAC0: 80523D52
	v_mul_lo_u32 v6, v5, s82                                   // 00000000DAC4: D2850006 0000A505
	v_readlane_b32 s82, v3, 11                                 // 00000000DACC: D2890052 00011703
	s_lshr_b32 s61, s82, 24                                    // 00000000DAD4: 8F3D9852
	s_and_b32 s82, s82, 0xffffff                               // 00000000DAD8: 8652FF52 00FFFFFF
	s_mul_i32 s82, s82, s71                                    // 00000000DAE0: 92524752
	s_mul_i32 s61, s60, s61                                    // 00000000DAE4: 923D3D3C
	s_add_u32 s82, s82, s61                                    // 00000000DAE8: 80523D52
	v_mul_lo_u32 v7, v4, s82                                   // 00000000DAEC: D2850007 0000A504
	v_add_u32_e32 v46, v6, v7                                  // 00000000DAF4: 685C0F06
	v_and_b32_e32 v4, 31, v0                                   // 00000000DAF8: 2608009F
	v_lshrrev_b32_e32 v4, 1, v4                                // 00000000DAFC: 20080881
	s_cmp_eq_u32 s88, 0                                        // 00000000DB00: BF068058
	s_cselect_b32 s61, 2, 4                                    // 00000000DB04: 853D8482
	v_mul_lo_u32 v4, v4, s61                                   // 00000000DB08: D2850004 00007B04
	v_and_b32_e64 v5, v0, 1                                    // 00000000DB10: D1130005 00010300
	v_add_u32_e32 v4, v4, v5                                   // 00000000DB18: 68080B04
	v_lshlrev_b32_e32 v4, 2, v4                                // 00000000DB1C: 24080882
	v_add_u32_e32 v41, v41, v4                                 // 00000000DB20: 68520929
	v_add_u32_e32 v42, v42, v4                                 // 00000000DB24: 6854092A
	v_add_u32_e32 v43, v43, v4                                 // 00000000DB28: 6856092B
	v_add_u32_e32 v44, v44, v4                                 // 00000000DB2C: 6858092C
	v_add_u32_e32 v45, v45, v4                                 // 00000000DB30: 685A092D
	v_add_u32_e32 v46, v46, v4                                 // 00000000DB34: 685C092E
	s_waitcnt lgkmcnt(0)                                       // 00000000DB38: BF8CC07F
	s_barrier                                                  // 00000000DB3C: BF8A0000
	ds_read_b32 v56, v21                                       // 00000000DB40: D86C0000 38000015
	ds_read_b32 v57, v21 offset:64                             // 00000000DB48: D86C0040 39000015
	ds_read_b32 v58, v21 offset:2176                           // 00000000DB50: D86C0880 3A000015
	ds_read_b32 v59, v21 offset:2240                           // 00000000DB58: D86C08C0 3B000015
	ds_read_b32 v60, v21 offset:4352                           // 00000000DB60: D86C1100 3C000015
	ds_read_b32 v61, v21 offset:4416                           // 00000000DB68: D86C1140 3D000015
	ds_read_b32 v62, v21 offset:6528                           // 00000000DB70: D86C1980 3E000015
	ds_read_b32 v63, v21 offset:6592                           // 00000000DB78: D86C19C0 3F000015
	ds_read_b32 v64, v21 offset:8704                           // 00000000DB80: D86C2200 40000015
	ds_read_b32 v65, v21 offset:8768                           // 00000000DB88: D86C2240 41000015
	ds_read_b32 v66, v21 offset:10880                          // 00000000DB90: D86C2A80 42000015
	ds_read_b32 v67, v21 offset:10944                          // 00000000DB98: D86C2AC0 43000015
	ds_read_b32 v68, v21 offset:13056                          // 00000000DBA0: D86C3300 44000015
	ds_read_b32 v69, v21 offset:13120                          // 00000000DBA8: D86C3340 45000015
	ds_read_b32 v70, v21 offset:15232                          // 00000000DBB0: D86C3B80 46000015
	ds_read_b32 v71, v21 offset:15296                          // 00000000DBB8: D86C3BC0 47000015
	ds_read_b32 v72, v21 offset:17408                          // 00000000DBC0: D86C4400 48000015
	ds_read_b32 v73, v21 offset:17472                          // 00000000DBC8: D86C4440 49000015
	ds_read_b32 v74, v21 offset:19584                          // 00000000DBD0: D86C4C80 4A000015
	ds_read_b32 v75, v21 offset:19648                          // 00000000DBD8: D86C4CC0 4B000015
	ds_read_b32 v76, v21 offset:21760                          // 00000000DBE0: D86C5500 4C000015
	ds_read_b32 v77, v21 offset:21824                          // 00000000DBE8: D86C5540 4D000015
	ds_read_b32 v78, v21 offset:23936                          // 00000000DBF0: D86C5D80 4E000015
	ds_read_b32 v79, v21 offset:24000                          // 00000000DBF8: D86C5DC0 4F000015
	ds_read_b32 v80, v21 offset:26112                          // 00000000DC00: D86C6600 50000015
	ds_read_b32 v81, v21 offset:26176                          // 00000000DC08: D86C6640 51000015
	ds_read_b32 v82, v21 offset:28288                          // 00000000DC10: D86C6E80 52000015
	ds_read_b32 v83, v21 offset:28352                          // 00000000DC18: D86C6EC0 53000015
	ds_read_b32 v84, v21 offset:30464                          // 00000000DC20: D86C7700 54000015
	ds_read_b32 v85, v21 offset:30528                          // 00000000DC28: D86C7740 55000015
	ds_read_b32 v86, v21 offset:32640                          // 00000000DC30: D86C7F80 56000015
	ds_read_b32 v87, v21 offset:32704                          // 00000000DC38: D86C7FC0 57000015
	ds_read_b32 v88, v21 offset:34816                          // 00000000DC40: D86C8800 58000015
	ds_read_b32 v89, v21 offset:34880                          // 00000000DC48: D86C8840 59000015
	ds_read_b32 v90, v21 offset:36992                          // 00000000DC50: D86C9080 5A000015
	ds_read_b32 v91, v21 offset:37056                          // 00000000DC58: D86C90C0 5B000015
	ds_read_b32 v92, v21 offset:39168                          // 00000000DC60: D86C9900 5C000015
	ds_read_b32 v93, v21 offset:39232                          // 00000000DC68: D86C9940 5D000015
	ds_read_b32 v94, v21 offset:41344                          // 00000000DC70: D86CA180 5E000015
	ds_read_b32 v95, v21 offset:41408                          // 00000000DC78: D86CA1C0 5F000015
	ds_read_b32 v96, v21 offset:43520                          // 00000000DC80: D86CAA00 60000015
	ds_read_b32 v97, v21 offset:43584                          // 00000000DC88: D86CAA40 61000015
	ds_read_b32 v98, v21 offset:45696                          // 00000000DC90: D86CB280 62000015
	ds_read_b32 v99, v21 offset:45760                          // 00000000DC98: D86CB2C0 63000015
	ds_read_b32 v100, v21 offset:47872                         // 00000000DCA0: D86CBB00 64000015
	ds_read_b32 v101, v21 offset:47936                         // 00000000DCA8: D86CBB40 65000015
	ds_read_b32 v102, v21 offset:50048                         // 00000000DCB0: D86CC380 66000015
	ds_read_b32 v103, v21 offset:50112                         // 00000000DCB8: D86CC3C0 67000015
	s_waitcnt lgkmcnt(0)                                       // 00000000DCC0: BF8CC07F
	s_mov_b32 s36, -1                                          // 00000000DCC4: BEA400C1
	s_mov_b32 s37, -1                                          // 00000000DCC8: BEA500C1
	v_mov_b32_e32 v7, 0                                        // 00000000DCCC: 7E0E0280
	s_or_b32 s9, s9, 0x40000                                   // 00000000DCD0: 8709FF09 00040000
	s_mov_b64 exec, s[36:37]                                   // 00000000DCD8: BEFE0124
	v_mov_b32_e32 v6, v41                                      // 00000000DCDC: 7E0C0329
	s_mov_b64 s[60:61], 0                                      // 00000000DCE0: BEBC0180
	v_readlane_b32 s82, v3, 0                                  // 00000000DCE4: D2890052 00010103
	s_and_b32 s82, s82, 0xffffff                               // 00000000DCEC: 8652FF52 00FFFFFF
	s_cmp_lt_u32 s82, s66                                      // 00000000DCF4: BF0A4252
	s_cselect_b32 s20, s36, s60                                // 00000000DCF8: 85143C24
	v_readlane_b32 s82, v3, 1                                  // 00000000DCFC: D2890052 00010303
	s_and_b32 s82, s82, 0xffffff                               // 00000000DD04: 8652FF52 00FFFFFF
	s_cmp_lt_u32 s82, s66                                      // 00000000DD0C: BF0A4252
	s_cselect_b32 s21, s36, s60                                // 00000000DD10: 85153C24
	s_mov_b64 exec, s[20:21]                                   // 00000000DD14: BEFE0114
	buffer_store_dword v56, v6, s[8:11], 0 offen               // 00000000DD18: E0701000 80023806
	buffer_store_dword v58, v6, s[8:11], 0 offen offset:128    // 00000000DD20: E0701080 80023A06
	buffer_store_dword v60, v6, s[8:11], 0 offen offset:256    // 00000000DD28: E0701100 80023C06
	buffer_store_dword v62, v6, s[8:11], 0 offen offset:384    // 00000000DD30: E0701180 80023E06
	buffer_store_dword v64, v6, s[8:11], 0 offen offset:512    // 00000000DD38: E0701200 80024006
	buffer_store_dword v66, v6, s[8:11], 0 offen offset:640    // 00000000DD40: E0701280 80024206
	buffer_store_dword v68, v6, s[8:11], 0 offen offset:768    // 00000000DD48: E0701300 80024406
	buffer_store_dword v70, v6, s[8:11], 0 offen offset:896    // 00000000DD50: E0701380 80024606
	s_mov_b64 exec, s[36:37]                                   // 00000000DD58: BEFE0124
	v_mov_b32_e32 v6, v42                                      // 00000000DD5C: 7E0C032A
	s_mov_b64 s[60:61], 0                                      // 00000000DD60: BEBC0180
	v_readlane_b32 s82, v3, 2                                  // 00000000DD64: D2890052 00010503
	s_and_b32 s82, s82, 0xffffff                               // 00000000DD6C: 8652FF52 00FFFFFF
	s_cmp_lt_u32 s82, s66                                      // 00000000DD74: BF0A4252
	s_cselect_b32 s20, s36, s60                                // 00000000DD78: 85143C24
	v_readlane_b32 s82, v3, 3                                  // 00000000DD7C: D2890052 00010703
	s_and_b32 s82, s82, 0xffffff                               // 00000000DD84: 8652FF52 00FFFFFF
	s_cmp_lt_u32 s82, s66                                      // 00000000DD8C: BF0A4252
	s_cselect_b32 s21, s36, s60                                // 00000000DD90: 85153C24
	s_mov_b64 exec, s[20:21]                                   // 00000000DD94: BEFE0114
	buffer_store_dword v57, v6, s[8:11], 0 offen               // 00000000DD98: E0701000 80023906
	buffer_store_dword v59, v6, s[8:11], 0 offen offset:128    // 00000000DDA0: E0701080 80023B06
	buffer_store_dword v61, v6, s[8:11], 0 offen offset:256    // 00000000DDA8: E0701100 80023D06
	buffer_store_dword v63, v6, s[8:11], 0 offen offset:384    // 00000000DDB0: E0701180 80023F06
	buffer_store_dword v65, v6, s[8:11], 0 offen offset:512    // 00000000DDB8: E0701200 80024106
	buffer_store_dword v67, v6, s[8:11], 0 offen offset:640    // 00000000DDC0: E0701280 80024306
	buffer_store_dword v69, v6, s[8:11], 0 offen offset:768    // 00000000DDC8: E0701300 80024506
	buffer_store_dword v71, v6, s[8:11], 0 offen offset:896    // 00000000DDD0: E0701380 80024706
	s_mov_b64 exec, s[36:37]                                   // 00000000DDD8: BEFE0124
	v_mov_b32_e32 v6, v43                                      // 00000000DDDC: 7E0C032B
	s_mov_b64 s[60:61], 0                                      // 00000000DDE0: BEBC0180
	v_readlane_b32 s82, v3, 4                                  // 00000000DDE4: D2890052 00010903
	s_and_b32 s82, s82, 0xffffff                               // 00000000DDEC: 8652FF52 00FFFFFF
	s_cmp_lt_u32 s82, s66                                      // 00000000DDF4: BF0A4252
	s_cselect_b32 s20, s36, s60                                // 00000000DDF8: 85143C24
	v_readlane_b32 s82, v3, 5                                  // 00000000DDFC: D2890052 00010B03
	s_and_b32 s82, s82, 0xffffff                               // 00000000DE04: 8652FF52 00FFFFFF
	s_cmp_lt_u32 s82, s66                                      // 00000000DE0C: BF0A4252
	s_cselect_b32 s21, s36, s60                                // 00000000DE10: 85153C24
	s_mov_b64 exec, s[20:21]                                   // 00000000DE14: BEFE0114
	buffer_store_dword v72, v6, s[8:11], 0 offen               // 00000000DE18: E0701000 80024806
	buffer_store_dword v74, v6, s[8:11], 0 offen offset:128    // 00000000DE20: E0701080 80024A06
	buffer_store_dword v76, v6, s[8:11], 0 offen offset:256    // 00000000DE28: E0701100 80024C06
	buffer_store_dword v78, v6, s[8:11], 0 offen offset:384    // 00000000DE30: E0701180 80024E06
	buffer_store_dword v80, v6, s[8:11], 0 offen offset:512    // 00000000DE38: E0701200 80025006
	buffer_store_dword v82, v6, s[8:11], 0 offen offset:640    // 00000000DE40: E0701280 80025206
	buffer_store_dword v84, v6, s[8:11], 0 offen offset:768    // 00000000DE48: E0701300 80025406
	buffer_store_dword v86, v6, s[8:11], 0 offen offset:896    // 00000000DE50: E0701380 80025606
	s_mov_b64 exec, s[36:37]                                   // 00000000DE58: BEFE0124
	v_mov_b32_e32 v6, v44                                      // 00000000DE5C: 7E0C032C
	s_mov_b64 s[60:61], 0                                      // 00000000DE60: BEBC0180
	v_readlane_b32 s82, v3, 6                                  // 00000000DE64: D2890052 00010D03
	s_and_b32 s82, s82, 0xffffff                               // 00000000DE6C: 8652FF52 00FFFFFF
	s_cmp_lt_u32 s82, s66                                      // 00000000DE74: BF0A4252
	s_cselect_b32 s20, s36, s60                                // 00000000DE78: 85143C24
	v_readlane_b32 s82, v3, 7                                  // 00000000DE7C: D2890052 00010F03
	s_and_b32 s82, s82, 0xffffff                               // 00000000DE84: 8652FF52 00FFFFFF
	s_cmp_lt_u32 s82, s66                                      // 00000000DE8C: BF0A4252
	s_cselect_b32 s21, s36, s60                                // 00000000DE90: 85153C24
	s_mov_b64 exec, s[20:21]                                   // 00000000DE94: BEFE0114
	buffer_store_dword v73, v6, s[8:11], 0 offen               // 00000000DE98: E0701000 80024906
	buffer_store_dword v75, v6, s[8:11], 0 offen offset:128    // 00000000DEA0: E0701080 80024B06
	buffer_store_dword v77, v6, s[8:11], 0 offen offset:256    // 00000000DEA8: E0701100 80024D06
	buffer_store_dword v79, v6, s[8:11], 0 offen offset:384    // 00000000DEB0: E0701180 80024F06
	buffer_store_dword v81, v6, s[8:11], 0 offen offset:512    // 00000000DEB8: E0701200 80025106
	buffer_store_dword v83, v6, s[8:11], 0 offen offset:640    // 00000000DEC0: E0701280 80025306
	buffer_store_dword v85, v6, s[8:11], 0 offen offset:768    // 00000000DEC8: E0701300 80025506
	buffer_store_dword v87, v6, s[8:11], 0 offen offset:896    // 00000000DED0: E0701380 80025706
	s_mov_b64 exec, s[36:37]                                   // 00000000DED8: BEFE0124
	v_mov_b32_e32 v6, v45                                      // 00000000DEDC: 7E0C032D
	s_mov_b64 s[60:61], 0                                      // 00000000DEE0: BEBC0180
	v_readlane_b32 s82, v3, 8                                  // 00000000DEE4: D2890052 00011103
	s_and_b32 s82, s82, 0xffffff                               // 00000000DEEC: 8652FF52 00FFFFFF
	s_cmp_lt_u32 s82, s66                                      // 00000000DEF4: BF0A4252
	s_cselect_b32 s20, s36, s60                                // 00000000DEF8: 85143C24
	v_readlane_b32 s82, v3, 9                                  // 00000000DEFC: D2890052 00011303
	s_and_b32 s82, s82, 0xffffff                               // 00000000DF04: 8652FF52 00FFFFFF
	s_cmp_lt_u32 s82, s66                                      // 00000000DF0C: BF0A4252
	s_cselect_b32 s21, s36, s60                                // 00000000DF10: 85153C24
	s_mov_b64 exec, s[20:21]                                   // 00000000DF14: BEFE0114
	buffer_store_dword v88, v6, s[8:11], 0 offen               // 00000000DF18: E0701000 80025806
	buffer_store_dword v90, v6, s[8:11], 0 offen offset:128    // 00000000DF20: E0701080 80025A06
	buffer_store_dword v92, v6, s[8:11], 0 offen offset:256    // 00000000DF28: E0701100 80025C06
	buffer_store_dword v94, v6, s[8:11], 0 offen offset:384    // 00000000DF30: E0701180 80025E06
	buffer_store_dword v96, v6, s[8:11], 0 offen offset:512    // 00000000DF38: E0701200 80026006
	buffer_store_dword v98, v6, s[8:11], 0 offen offset:640    // 00000000DF40: E0701280 80026206
	buffer_store_dword v100, v6, s[8:11], 0 offen offset:768   // 00000000DF48: E0701300 80026406
	buffer_store_dword v102, v6, s[8:11], 0 offen offset:896   // 00000000DF50: E0701380 80026606
	s_mov_b64 exec, s[36:37]                                   // 00000000DF58: BEFE0124
	v_mov_b32_e32 v6, v46                                      // 00000000DF5C: 7E0C032E
	s_mov_b64 s[60:61], 0                                      // 00000000DF60: BEBC0180
	v_readlane_b32 s82, v3, 10                                 // 00000000DF64: D2890052 00011503
	s_and_b32 s82, s82, 0xffffff                               // 00000000DF6C: 8652FF52 00FFFFFF
	s_cmp_lt_u32 s82, s66                                      // 00000000DF74: BF0A4252
	s_cselect_b32 s20, s36, s60                                // 00000000DF78: 85143C24
	v_readlane_b32 s82, v3, 11                                 // 00000000DF7C: D2890052 00011703
	s_and_b32 s82, s82, 0xffffff                               // 00000000DF84: 8652FF52 00FFFFFF
	s_cmp_lt_u32 s82, s66                                      // 00000000DF8C: BF0A4252
	s_cselect_b32 s21, s36, s60                                // 00000000DF90: 85153C24
	s_mov_b64 exec, s[20:21]                                   // 00000000DF94: BEFE0114
	buffer_store_dword v89, v6, s[8:11], 0 offen               // 00000000DF98: E0701000 80025906
	buffer_store_dword v91, v6, s[8:11], 0 offen offset:128    // 00000000DFA0: E0701080 80025B06
	buffer_store_dword v93, v6, s[8:11], 0 offen offset:256    // 00000000DFA8: E0701100 80025D06
	buffer_store_dword v95, v6, s[8:11], 0 offen offset:384    // 00000000DFB0: E0701180 80025F06
	buffer_store_dword v97, v6, s[8:11], 0 offen offset:512    // 00000000DFB8: E0701200 80026106
	buffer_store_dword v99, v6, s[8:11], 0 offen offset:640    // 00000000DFC0: E0701280 80026306
	buffer_store_dword v101, v6, s[8:11], 0 offen offset:768   // 00000000DFC8: E0701300 80026506
	buffer_store_dword v103, v6, s[8:11], 0 offen offset:896   // 00000000DFD0: E0701380 80026706
	s_mov_b64 exec, s[36:37]                                   // 00000000DFD8: BEFE0124
	s_branch label_3369                                        // 00000000DFDC: BF8205EE

000000000000dfe0 <label_2D7B>:
	ds_write_b64 v20, v[56:57]                                 // 00000000DFE0: D89A0000 00003814
	ds_write_b64 v20, v[60:61] offset:17408                    // 00000000DFE8: D89A4400 00003C14
	ds_write_b64 v20, v[64:65] offset:34816                    // 00000000DFF0: D89A8800 00004014
	ds_write_b64 v20, v[68:69] offset:2176                     // 00000000DFF8: D89A0880 00004414
	ds_write_b64 v20, v[72:73] offset:19584                    // 00000000E000: D89A4C80 00004814
	ds_write_b64 v20, v[76:77] offset:36992                    // 00000000E008: D89A9080 00004C14
	ds_write_b64 v20, v[80:81] offset:4352                     // 00000000E010: D89A1100 00005014
	ds_write_b64 v20, v[84:85] offset:21760                    // 00000000E018: D89A5500 00005414
	ds_write_b64 v20, v[88:89] offset:39168                    // 00000000E020: D89A9900 00005814
	ds_write_b64 v20, v[92:93] offset:6528                     // 00000000E028: D89A1980 00005C14
	ds_write_b64 v20, v[96:97] offset:23936                    // 00000000E030: D89A5D80 00006014
	ds_write_b64 v20, v[100:101] offset:41344                  // 00000000E038: D89AA180 00006414
	ds_write_b64 v20, v[104:105] offset:8704                   // 00000000E040: D89A2200 00006814
	ds_write_b64 v20, v[108:109] offset:26112                  // 00000000E048: D89A6600 00006C14
	ds_write_b64 v20, v[112:113] offset:43520                  // 00000000E050: D89AAA00 00007014
	ds_write_b64 v20, v[116:117] offset:10880                  // 00000000E058: D89A2A80 00007414
	ds_write_b64 v20, v[120:121] offset:28288                  // 00000000E060: D89A6E80 00007814
	ds_write_b64 v20, v[124:125] offset:45696                  // 00000000E068: D89AB280 00007C14
	ds_write_b64 v20, v[128:129] offset:13056                  // 00000000E070: D89A3300 00008014
	ds_write_b64 v20, v[132:133] offset:30464                  // 00000000E078: D89A7700 00008414
	ds_write_b64 v20, v[136:137] offset:47872                  // 00000000E080: D89ABB00 00008814
	ds_write_b64 v20, v[140:141] offset:15232                  // 00000000E088: D89A3B80 00008C14
	ds_write_b64 v20, v[144:145] offset:32640                  // 00000000E090: D89A7F80 00009014
	ds_write_b64 v20, v[148:149] offset:50048                  // 00000000E098: D89AC380 00009414
	v_lshrrev_b32_e32 v4, 5, v0                                // 00000000E0A0: 20080085
	v_xor_b32_e32 v5, 1, v4                                    // 00000000E0A4: 2A0A0881
	s_mul_i32 s60, s65, 2                                      // 00000000E0A8: 923C8241
	s_cmp_eq_u32 s88, 0                                        // 00000000E0AC: BF068058
	s_cselect_b32 s61, 1, 4                                    // 00000000E0B0: 853D8481
	s_mul_i32 s60, s61, s60                                    // 00000000E0B4: 923C3C3D
	v_readlane_b32 s82, v3, 0                                  // 00000000E0B8: D2890052 00010103
	s_lshr_b32 s61, s82, 24                                    // 00000000E0C0: 8F3D9852
	s_and_b32 s82, s82, 0xffffff                               // 00000000E0C4: 8652FF52 00FFFFFF
	s_mul_i32 s82, s82, s71                                    // 00000000E0CC: 92524752
	s_mul_i32 s61, s60, s61                                    // 00000000E0D0: 923D3D3C
	s_add_u32 s82, s82, s61                                    // 00000000E0D4: 80523D52
	v_mul_lo_u32 v6, v5, s82                                   // 00000000E0D8: D2850006 0000A505
	v_readlane_b32 s82, v3, 1                                  // 00000000E0E0: D2890052 00010303
	s_lshr_b32 s61, s82, 24                                    // 00000000E0E8: 8F3D9852
	s_and_b32 s82, s82, 0xffffff                               // 00000000E0EC: 8652FF52 00FFFFFF
	s_mul_i32 s82, s82, s71                                    // 00000000E0F4: 92524752
	s_mul_i32 s61, s60, s61                                    // 00000000E0F8: 923D3D3C
	s_add_u32 s82, s82, s61                                    // 00000000E0FC: 80523D52
	v_mul_lo_u32 v7, v4, s82                                   // 00000000E100: D2850007 0000A504
	v_add_u32_e32 v41, v6, v7                                  // 00000000E108: 68520F06
	v_readlane_b32 s82, v3, 2                                  // 00000000E10C: D2890052 00010503
	s_lshr_b32 s61, s82, 24                                    // 00000000E114: 8F3D9852
	s_and_b32 s82, s82, 0xffffff                               // 00000000E118: 8652FF52 00FFFFFF
	s_mul_i32 s82, s82, s71                                    // 00000000E120: 92524752
	s_mul_i32 s61, s60, s61                                    // 00000000E124: 923D3D3C
	s_add_u32 s82, s82, s61                                    // 00000000E128: 80523D52
	v_mul_lo_u32 v6, v5, s82                                   // 00000000E12C: D2850006 0000A505
	v_readlane_b32 s82, v3, 3                                  // 00000000E134: D2890052 00010703
	s_lshr_b32 s61, s82, 24                                    // 00000000E13C: 8F3D9852
	s_and_b32 s82, s82, 0xffffff                               // 00000000E140: 8652FF52 00FFFFFF
	s_mul_i32 s82, s82, s71                                    // 00000000E148: 92524752
	s_mul_i32 s61, s60, s61                                    // 00000000E14C: 923D3D3C
	s_add_u32 s82, s82, s61                                    // 00000000E150: 80523D52
	v_mul_lo_u32 v7, v4, s82                                   // 00000000E154: D2850007 0000A504
	v_add_u32_e32 v42, v6, v7                                  // 00000000E15C: 68540F06
	v_readlane_b32 s82, v3, 4                                  // 00000000E160: D2890052 00010903
	s_lshr_b32 s61, s82, 24                                    // 00000000E168: 8F3D9852
	s_and_b32 s82, s82, 0xffffff                               // 00000000E16C: 8652FF52 00FFFFFF
	s_mul_i32 s82, s82, s71                                    // 00000000E174: 92524752
	s_mul_i32 s61, s60, s61                                    // 00000000E178: 923D3D3C
	s_add_u32 s82, s82, s61                                    // 00000000E17C: 80523D52
	v_mul_lo_u32 v6, v5, s82                                   // 00000000E180: D2850006 0000A505
	v_readlane_b32 s82, v3, 5                                  // 00000000E188: D2890052 00010B03
	s_lshr_b32 s61, s82, 24                                    // 00000000E190: 8F3D9852
	s_and_b32 s82, s82, 0xffffff                               // 00000000E194: 8652FF52 00FFFFFF
	s_mul_i32 s82, s82, s71                                    // 00000000E19C: 92524752
	s_mul_i32 s61, s60, s61                                    // 00000000E1A0: 923D3D3C
	s_add_u32 s82, s82, s61                                    // 00000000E1A4: 80523D52
	v_mul_lo_u32 v7, v4, s82                                   // 00000000E1A8: D2850007 0000A504
	v_add_u32_e32 v43, v6, v7                                  // 00000000E1B0: 68560F06
	v_readlane_b32 s82, v3, 6                                  // 00000000E1B4: D2890052 00010D03
	s_lshr_b32 s61, s82, 24                                    // 00000000E1BC: 8F3D9852
	s_and_b32 s82, s82, 0xffffff                               // 00000000E1C0: 8652FF52 00FFFFFF
	s_mul_i32 s82, s82, s71                                    // 00000000E1C8: 92524752
	s_mul_i32 s61, s60, s61                                    // 00000000E1CC: 923D3D3C
	s_add_u32 s82, s82, s61                                    // 00000000E1D0: 80523D52
	v_mul_lo_u32 v6, v5, s82                                   // 00000000E1D4: D2850006 0000A505
	v_readlane_b32 s82, v3, 7                                  // 00000000E1DC: D2890052 00010F03
	s_lshr_b32 s61, s82, 24                                    // 00000000E1E4: 8F3D9852
	s_and_b32 s82, s82, 0xffffff                               // 00000000E1E8: 8652FF52 00FFFFFF
	s_mul_i32 s82, s82, s71                                    // 00000000E1F0: 92524752
	s_mul_i32 s61, s60, s61                                    // 00000000E1F4: 923D3D3C
	s_add_u32 s82, s82, s61                                    // 00000000E1F8: 80523D52
	v_mul_lo_u32 v7, v4, s82                                   // 00000000E1FC: D2850007 0000A504
	v_add_u32_e32 v44, v6, v7                                  // 00000000E204: 68580F06
	v_readlane_b32 s82, v3, 8                                  // 00000000E208: D2890052 00011103
	s_lshr_b32 s61, s82, 24                                    // 00000000E210: 8F3D9852
	s_and_b32 s82, s82, 0xffffff                               // 00000000E214: 8652FF52 00FFFFFF
	s_mul_i32 s82, s82, s71                                    // 00000000E21C: 92524752
	s_mul_i32 s61, s60, s61                                    // 00000000E220: 923D3D3C
	s_add_u32 s82, s82, s61                                    // 00000000E224: 80523D52
	v_mul_lo_u32 v6, v5, s82                                   // 00000000E228: D2850006 0000A505
	v_readlane_b32 s82, v3, 9                                  // 00000000E230: D2890052 00011303
	s_lshr_b32 s61, s82, 24                                    // 00000000E238: 8F3D9852
	s_and_b32 s82, s82, 0xffffff                               // 00000000E23C: 8652FF52 00FFFFFF
	s_mul_i32 s82, s82, s71                                    // 00000000E244: 92524752
	s_mul_i32 s61, s60, s61                                    // 00000000E248: 923D3D3C
	s_add_u32 s82, s82, s61                                    // 00000000E24C: 80523D52
	v_mul_lo_u32 v7, v4, s82                                   // 00000000E250: D2850007 0000A504
	v_add_u32_e32 v45, v6, v7                                  // 00000000E258: 685A0F06
	v_readlane_b32 s82, v3, 10                                 // 00000000E25C: D2890052 00011503
	s_lshr_b32 s61, s82, 24                                    // 00000000E264: 8F3D9852
	s_and_b32 s82, s82, 0xffffff                               // 00000000E268: 8652FF52 00FFFFFF
	s_mul_i32 s82, s82, s71                                    // 00000000E270: 92524752
	s_mul_i32 s61, s60, s61                                    // 00000000E274: 923D3D3C
	s_add_u32 s82, s82, s61                                    // 00000000E278: 80523D52
	v_mul_lo_u32 v6, v5, s82                                   // 00000000E27C: D2850006 0000A505
	v_readlane_b32 s82, v3, 11                                 // 00000000E284: D2890052 00011703
	s_lshr_b32 s61, s82, 24                                    // 00000000E28C: 8F3D9852
	s_and_b32 s82, s82, 0xffffff                               // 00000000E290: 8652FF52 00FFFFFF
	s_mul_i32 s82, s82, s71                                    // 00000000E298: 92524752
	s_mul_i32 s61, s60, s61                                    // 00000000E29C: 923D3D3C
	s_add_u32 s82, s82, s61                                    // 00000000E2A0: 80523D52
	v_mul_lo_u32 v7, v4, s82                                   // 00000000E2A4: D2850007 0000A504
	v_add_u32_e32 v46, v6, v7                                  // 00000000E2AC: 685C0F06
	v_and_b32_e32 v4, 31, v0                                   // 00000000E2B0: 2608009F
	v_lshrrev_b32_e32 v4, 1, v4                                // 00000000E2B4: 20080881
	s_cmp_eq_u32 s88, 0                                        // 00000000E2B8: BF068058
	s_cselect_b32 s61, 2, 4                                    // 00000000E2BC: 853D8482
	v_mul_lo_u32 v4, v4, s61                                   // 00000000E2C0: D2850004 00007B04
	v_and_b32_e64 v5, v0, 1                                    // 00000000E2C8: D1130005 00010300
	v_add_u32_e32 v4, v4, v5                                   // 00000000E2D0: 68080B04
	v_lshlrev_b32_e32 v4, 2, v4                                // 00000000E2D4: 24080882
	v_add_u32_e32 v41, v41, v4                                 // 00000000E2D8: 68520929
	v_add_u32_e32 v42, v42, v4                                 // 00000000E2DC: 6854092A
	v_add_u32_e32 v43, v43, v4                                 // 00000000E2E0: 6856092B
	v_add_u32_e32 v44, v44, v4                                 // 00000000E2E4: 6858092C
	v_add_u32_e32 v45, v45, v4                                 // 00000000E2E8: 685A092D
	v_add_u32_e32 v46, v46, v4                                 // 00000000E2EC: 685C092E
	s_waitcnt lgkmcnt(0)                                       // 00000000E2F0: BF8CC07F
	s_barrier                                                  // 00000000E2F4: BF8A0000
	ds_read_b32 v56, v21                                       // 00000000E2F8: D86C0000 38000015
	ds_read_b32 v57, v21 offset:64                             // 00000000E300: D86C0040 39000015
	ds_read_b32 v60, v21 offset:2176                           // 00000000E308: D86C0880 3C000015
	ds_read_b32 v61, v21 offset:2240                           // 00000000E310: D86C08C0 3D000015
	ds_read_b32 v64, v21 offset:4352                           // 00000000E318: D86C1100 40000015
	ds_read_b32 v65, v21 offset:4416                           // 00000000E320: D86C1140 41000015
	ds_read_b32 v68, v21 offset:6528                           // 00000000E328: D86C1980 44000015
	ds_read_b32 v69, v21 offset:6592                           // 00000000E330: D86C19C0 45000015
	ds_read_b32 v72, v21 offset:8704                           // 00000000E338: D86C2200 48000015
	ds_read_b32 v73, v21 offset:8768                           // 00000000E340: D86C2240 49000015
	ds_read_b32 v76, v21 offset:10880                          // 00000000E348: D86C2A80 4C000015
	ds_read_b32 v77, v21 offset:10944                          // 00000000E350: D86C2AC0 4D000015
	ds_read_b32 v80, v21 offset:13056                          // 00000000E358: D86C3300 50000015
	ds_read_b32 v81, v21 offset:13120                          // 00000000E360: D86C3340 51000015
	ds_read_b32 v84, v21 offset:15232                          // 00000000E368: D86C3B80 54000015
	ds_read_b32 v85, v21 offset:15296                          // 00000000E370: D86C3BC0 55000015
	ds_read_b32 v88, v21 offset:17408                          // 00000000E378: D86C4400 58000015
	ds_read_b32 v89, v21 offset:17472                          // 00000000E380: D86C4440 59000015
	ds_read_b32 v92, v21 offset:19584                          // 00000000E388: D86C4C80 5C000015
	ds_read_b32 v93, v21 offset:19648                          // 00000000E390: D86C4CC0 5D000015
	ds_read_b32 v96, v21 offset:21760                          // 00000000E398: D86C5500 60000015
	ds_read_b32 v97, v21 offset:21824                          // 00000000E3A0: D86C5540 61000015
	ds_read_b32 v100, v21 offset:23936                         // 00000000E3A8: D86C5D80 64000015
	ds_read_b32 v101, v21 offset:24000                         // 00000000E3B0: D86C5DC0 65000015
	ds_read_b32 v104, v21 offset:26112                         // 00000000E3B8: D86C6600 68000015
	ds_read_b32 v105, v21 offset:26176                         // 00000000E3C0: D86C6640 69000015
	ds_read_b32 v108, v21 offset:28288                         // 00000000E3C8: D86C6E80 6C000015
	ds_read_b32 v109, v21 offset:28352                         // 00000000E3D0: D86C6EC0 6D000015
	ds_read_b32 v112, v21 offset:30464                         // 00000000E3D8: D86C7700 70000015
	ds_read_b32 v113, v21 offset:30528                         // 00000000E3E0: D86C7740 71000015
	ds_read_b32 v116, v21 offset:32640                         // 00000000E3E8: D86C7F80 74000015
	ds_read_b32 v117, v21 offset:32704                         // 00000000E3F0: D86C7FC0 75000015
	ds_read_b32 v120, v21 offset:34816                         // 00000000E3F8: D86C8800 78000015
	ds_read_b32 v121, v21 offset:34880                         // 00000000E400: D86C8840 79000015
	ds_read_b32 v124, v21 offset:36992                         // 00000000E408: D86C9080 7C000015
	ds_read_b32 v125, v21 offset:37056                         // 00000000E410: D86C90C0 7D000015
	ds_read_b32 v128, v21 offset:39168                         // 00000000E418: D86C9900 80000015
	ds_read_b32 v129, v21 offset:39232                         // 00000000E420: D86C9940 81000015
	ds_read_b32 v132, v21 offset:41344                         // 00000000E428: D86CA180 84000015
	ds_read_b32 v133, v21 offset:41408                         // 00000000E430: D86CA1C0 85000015
	ds_read_b32 v136, v21 offset:43520                         // 00000000E438: D86CAA00 88000015
	ds_read_b32 v137, v21 offset:43584                         // 00000000E440: D86CAA40 89000015
	ds_read_b32 v140, v21 offset:45696                         // 00000000E448: D86CB280 8C000015
	ds_read_b32 v141, v21 offset:45760                         // 00000000E450: D86CB2C0 8D000015
	ds_read_b32 v144, v21 offset:47872                         // 00000000E458: D86CBB00 90000015
	ds_read_b32 v145, v21 offset:47936                         // 00000000E460: D86CBB40 91000015
	ds_read_b32 v148, v21 offset:50048                         // 00000000E468: D86CC380 94000015
	ds_read_b32 v149, v21 offset:50112                         // 00000000E470: D86CC3C0 95000015
	s_waitcnt lgkmcnt(0)                                       // 00000000E478: BF8CC07F
	s_mov_b32 s36, -1                                          // 00000000E47C: BEA400C1
	s_mov_b32 s37, -1                                          // 00000000E480: BEA500C1
	v_mov_b32_e32 v7, 0                                        // 00000000E484: 7E0E0280
	s_mov_b64 exec, s[36:37]                                   // 00000000E488: BEFE0124
	v_mov_b32_e32 v6, v41                                      // 00000000E48C: 7E0C0329
	s_mov_b64 s[60:61], 0                                      // 00000000E490: BEBC0180
	v_readlane_b32 s82, v3, 0                                  // 00000000E494: D2890052 00010103
	s_and_b32 s82, s82, 0xffffff                               // 00000000E49C: 8652FF52 00FFFFFF
	s_cmp_lt_u32 s82, s66                                      // 00000000E4A4: BF0A4252
	s_cselect_b32 s20, s36, s60                                // 00000000E4A8: 85143C24
	v_readlane_b32 s82, v3, 1                                  // 00000000E4AC: D2890052 00010303
	s_and_b32 s82, s82, 0xffffff                               // 00000000E4B4: 8652FF52 00FFFFFF
	s_cmp_lt_u32 s82, s66                                      // 00000000E4BC: BF0A4252
	s_cselect_b32 s21, s36, s60                                // 00000000E4C0: 85153C24
	s_mov_b64 exec, s[20:21]                                   // 00000000E4C4: BEFE0114
	global_atomic_add_f32 v6, v56, s[8:9]                      // 00000000E4C8: DD348000 00083806
	global_atomic_add_f32 v6, v60, s[8:9] offset:256           // 00000000E4D0: DD348100 00083C06
	global_atomic_add_f32 v6, v64, s[8:9] offset:512           // 00000000E4D8: DD348200 00084006
	global_atomic_add_f32 v6, v68, s[8:9] offset:768           // 00000000E4E0: DD348300 00084406
	global_atomic_add_f32 v6, v72, s[8:9] offset:1024          // 00000000E4E8: DD348400 00084806
	global_atomic_add_f32 v6, v76, s[8:9] offset:1280          // 00000000E4F0: DD348500 00084C06
	global_atomic_add_f32 v6, v80, s[8:9] offset:1536          // 00000000E4F8: DD348600 00085006
	global_atomic_add_f32 v6, v84, s[8:9] offset:1792          // 00000000E500: DD348700 00085406
	s_mov_b64 exec, s[36:37]                                   // 00000000E508: BEFE0124
	v_mov_b32_e32 v6, v42                                      // 00000000E50C: 7E0C032A
	s_mov_b64 s[60:61], 0                                      // 00000000E510: BEBC0180
	v_readlane_b32 s82, v3, 2                                  // 00000000E514: D2890052 00010503
	s_and_b32 s82, s82, 0xffffff                               // 00000000E51C: 8652FF52 00FFFFFF
	s_cmp_lt_u32 s82, s66                                      // 00000000E524: BF0A4252
	s_cselect_b32 s20, s36, s60                                // 00000000E528: 85143C24
	v_readlane_b32 s82, v3, 3                                  // 00000000E52C: D2890052 00010703
	s_and_b32 s82, s82, 0xffffff                               // 00000000E534: 8652FF52 00FFFFFF
	s_cmp_lt_u32 s82, s66                                      // 00000000E53C: BF0A4252
	s_cselect_b32 s21, s36, s60                                // 00000000E540: 85153C24
	s_mov_b64 exec, s[20:21]                                   // 00000000E544: BEFE0114
	global_atomic_add_f32 v6, v57, s[8:9]                      // 00000000E548: DD348000 00083906
	global_atomic_add_f32 v6, v61, s[8:9] offset:256           // 00000000E550: DD348100 00083D06
	global_atomic_add_f32 v6, v65, s[8:9] offset:512           // 00000000E558: DD348200 00084106
	global_atomic_add_f32 v6, v69, s[8:9] offset:768           // 00000000E560: DD348300 00084506
	global_atomic_add_f32 v6, v73, s[8:9] offset:1024          // 00000000E568: DD348400 00084906
	global_atomic_add_f32 v6, v77, s[8:9] offset:1280          // 00000000E570: DD348500 00084D06
	global_atomic_add_f32 v6, v81, s[8:9] offset:1536          // 00000000E578: DD348600 00085106
	global_atomic_add_f32 v6, v85, s[8:9] offset:1792          // 00000000E580: DD348700 00085506
	s_mov_b64 exec, s[36:37]                                   // 00000000E588: BEFE0124
	v_mov_b32_e32 v6, v43                                      // 00000000E58C: 7E0C032B
	s_mov_b64 s[60:61], 0                                      // 00000000E590: BEBC0180
	v_readlane_b32 s82, v3, 4                                  // 00000000E594: D2890052 00010903
	s_and_b32 s82, s82, 0xffffff                               // 00000000E59C: 8652FF52 00FFFFFF
	s_cmp_lt_u32 s82, s66                                      // 00000000E5A4: BF0A4252
	s_cselect_b32 s20, s36, s60                                // 00000000E5A8: 85143C24
	v_readlane_b32 s82, v3, 5                                  // 00000000E5AC: D2890052 00010B03
	s_and_b32 s82, s82, 0xffffff                               // 00000000E5B4: 8652FF52 00FFFFFF
	s_cmp_lt_u32 s82, s66                                      // 00000000E5BC: BF0A4252
	s_cselect_b32 s21, s36, s60                                // 00000000E5C0: 85153C24
	s_mov_b64 exec, s[20:21]                                   // 00000000E5C4: BEFE0114
	global_atomic_add_f32 v6, v88, s[8:9]                      // 00000000E5C8: DD348000 00085806
	global_atomic_add_f32 v6, v92, s[8:9] offset:256           // 00000000E5D0: DD348100 00085C06
	global_atomic_add_f32 v6, v96, s[8:9] offset:512           // 00000000E5D8: DD348200 00086006
	global_atomic_add_f32 v6, v100, s[8:9] offset:768          // 00000000E5E0: DD348300 00086406
	global_atomic_add_f32 v6, v104, s[8:9] offset:1024         // 00000000E5E8: DD348400 00086806
	global_atomic_add_f32 v6, v108, s[8:9] offset:1280         // 00000000E5F0: DD348500 00086C06
	global_atomic_add_f32 v6, v112, s[8:9] offset:1536         // 00000000E5F8: DD348600 00087006
	global_atomic_add_f32 v6, v116, s[8:9] offset:1792         // 00000000E600: DD348700 00087406
	s_mov_b64 exec, s[36:37]                                   // 00000000E608: BEFE0124
	v_mov_b32_e32 v6, v44                                      // 00000000E60C: 7E0C032C
	s_mov_b64 s[60:61], 0                                      // 00000000E610: BEBC0180
	v_readlane_b32 s82, v3, 6                                  // 00000000E614: D2890052 00010D03
	s_and_b32 s82, s82, 0xffffff                               // 00000000E61C: 8652FF52 00FFFFFF
	s_cmp_lt_u32 s82, s66                                      // 00000000E624: BF0A4252
	s_cselect_b32 s20, s36, s60                                // 00000000E628: 85143C24
	v_readlane_b32 s82, v3, 7                                  // 00000000E62C: D2890052 00010F03
	s_and_b32 s82, s82, 0xffffff                               // 00000000E634: 8652FF52 00FFFFFF
	s_cmp_lt_u32 s82, s66                                      // 00000000E63C: BF0A4252
	s_cselect_b32 s21, s36, s60                                // 00000000E640: 85153C24
	s_mov_b64 exec, s[20:21]                                   // 00000000E644: BEFE0114
	global_atomic_add_f32 v6, v89, s[8:9]                      // 00000000E648: DD348000 00085906
	global_atomic_add_f32 v6, v93, s[8:9] offset:256           // 00000000E650: DD348100 00085D06
	global_atomic_add_f32 v6, v97, s[8:9] offset:512           // 00000000E658: DD348200 00086106
	global_atomic_add_f32 v6, v101, s[8:9] offset:768          // 00000000E660: DD348300 00086506
	global_atomic_add_f32 v6, v105, s[8:9] offset:1024         // 00000000E668: DD348400 00086906
	global_atomic_add_f32 v6, v109, s[8:9] offset:1280         // 00000000E670: DD348500 00086D06
	global_atomic_add_f32 v6, v113, s[8:9] offset:1536         // 00000000E678: DD348600 00087106
	global_atomic_add_f32 v6, v117, s[8:9] offset:1792         // 00000000E680: DD348700 00087506
	s_mov_b64 exec, s[36:37]                                   // 00000000E688: BEFE0124
	v_mov_b32_e32 v6, v45                                      // 00000000E68C: 7E0C032D
	s_mov_b64 s[60:61], 0                                      // 00000000E690: BEBC0180
	v_readlane_b32 s82, v3, 8                                  // 00000000E694: D2890052 00011103
	s_and_b32 s82, s82, 0xffffff                               // 00000000E69C: 8652FF52 00FFFFFF
	s_cmp_lt_u32 s82, s66                                      // 00000000E6A4: BF0A4252
	s_cselect_b32 s20, s36, s60                                // 00000000E6A8: 85143C24
	v_readlane_b32 s82, v3, 9                                  // 00000000E6AC: D2890052 00011303
	s_and_b32 s82, s82, 0xffffff                               // 00000000E6B4: 8652FF52 00FFFFFF
	s_cmp_lt_u32 s82, s66                                      // 00000000E6BC: BF0A4252
	s_cselect_b32 s21, s36, s60                                // 00000000E6C0: 85153C24
	s_mov_b64 exec, s[20:21]                                   // 00000000E6C4: BEFE0114
	global_atomic_add_f32 v6, v120, s[8:9]                     // 00000000E6C8: DD348000 00087806
	global_atomic_add_f32 v6, v124, s[8:9] offset:256          // 00000000E6D0: DD348100 00087C06
	global_atomic_add_f32 v6, v128, s[8:9] offset:512          // 00000000E6D8: DD348200 00088006
	global_atomic_add_f32 v6, v132, s[8:9] offset:768          // 00000000E6E0: DD348300 00088406
	global_atomic_add_f32 v6, v136, s[8:9] offset:1024         // 00000000E6E8: DD348400 00088806
	global_atomic_add_f32 v6, v140, s[8:9] offset:1280         // 00000000E6F0: DD348500 00088C06
	global_atomic_add_f32 v6, v144, s[8:9] offset:1536         // 00000000E6F8: DD348600 00089006
	global_atomic_add_f32 v6, v148, s[8:9] offset:1792         // 00000000E700: DD348700 00089406
	s_mov_b64 exec, s[36:37]                                   // 00000000E708: BEFE0124
	v_mov_b32_e32 v6, v46                                      // 00000000E70C: 7E0C032E
	s_mov_b64 s[60:61], 0                                      // 00000000E710: BEBC0180
	v_readlane_b32 s82, v3, 10                                 // 00000000E714: D2890052 00011503
	s_and_b32 s82, s82, 0xffffff                               // 00000000E71C: 8652FF52 00FFFFFF
	s_cmp_lt_u32 s82, s66                                      // 00000000E724: BF0A4252
	s_cselect_b32 s20, s36, s60                                // 00000000E728: 85143C24
	v_readlane_b32 s82, v3, 11                                 // 00000000E72C: D2890052 00011703
	s_and_b32 s82, s82, 0xffffff                               // 00000000E734: 8652FF52 00FFFFFF
	s_cmp_lt_u32 s82, s66                                      // 00000000E73C: BF0A4252
	s_cselect_b32 s21, s36, s60                                // 00000000E740: 85153C24
	s_mov_b64 exec, s[20:21]                                   // 00000000E744: BEFE0114
	global_atomic_add_f32 v6, v121, s[8:9]                     // 00000000E748: DD348000 00087906
	global_atomic_add_f32 v6, v125, s[8:9] offset:256          // 00000000E750: DD348100 00087D06
	global_atomic_add_f32 v6, v129, s[8:9] offset:512          // 00000000E758: DD348200 00088106
	global_atomic_add_f32 v6, v133, s[8:9] offset:768          // 00000000E760: DD348300 00088506
	global_atomic_add_f32 v6, v137, s[8:9] offset:1024         // 00000000E768: DD348400 00088906
	global_atomic_add_f32 v6, v141, s[8:9] offset:1280         // 00000000E770: DD348500 00088D06
	global_atomic_add_f32 v6, v145, s[8:9] offset:1536         // 00000000E778: DD348600 00089106
	global_atomic_add_f32 v6, v149, s[8:9] offset:1792         // 00000000E780: DD348700 00089506
	s_mov_b64 exec, s[36:37]                                   // 00000000E788: BEFE0124
	ds_write_b64 v20, v[58:59]                                 // 00000000E78C: D89A0000 00003A14
	ds_write_b64 v20, v[62:63] offset:17408                    // 00000000E794: D89A4400 00003E14
	ds_write_b64 v20, v[66:67] offset:34816                    // 00000000E79C: D89A8800 00004214
	ds_write_b64 v20, v[70:71] offset:2176                     // 00000000E7A4: D89A0880 00004614
	ds_write_b64 v20, v[74:75] offset:19584                    // 00000000E7AC: D89A4C80 00004A14
	ds_write_b64 v20, v[78:79] offset:36992                    // 00000000E7B4: D89A9080 00004E14
	ds_write_b64 v20, v[82:83] offset:4352                     // 00000000E7BC: D89A1100 00005214
	ds_write_b64 v20, v[86:87] offset:21760                    // 00000000E7C4: D89A5500 00005614
	ds_write_b64 v20, v[90:91] offset:39168                    // 00000000E7CC: D89A9900 00005A14
	ds_write_b64 v20, v[94:95] offset:6528                     // 00000000E7D4: D89A1980 00005E14
	ds_write_b64 v20, v[98:99] offset:23936                    // 00000000E7DC: D89A5D80 00006214
	ds_write_b64 v20, v[102:103] offset:41344                  // 00000000E7E4: D89AA180 00006614
	ds_write_b64 v20, v[106:107] offset:8704                   // 00000000E7EC: D89A2200 00006A14
	ds_write_b64 v20, v[110:111] offset:26112                  // 00000000E7F4: D89A6600 00006E14
	ds_write_b64 v20, v[114:115] offset:43520                  // 00000000E7FC: D89AAA00 00007214
	ds_write_b64 v20, v[118:119] offset:10880                  // 00000000E804: D89A2A80 00007614
	ds_write_b64 v20, v[122:123] offset:28288                  // 00000000E80C: D89A6E80 00007A14
	ds_write_b64 v20, v[126:127] offset:45696                  // 00000000E814: D89AB280 00007E14
	ds_write_b64 v20, v[130:131] offset:13056                  // 00000000E81C: D89A3300 00008214
	ds_write_b64 v20, v[134:135] offset:30464                  // 00000000E824: D89A7700 00008614
	ds_write_b64 v20, v[138:139] offset:47872                  // 00000000E82C: D89ABB00 00008A14
	ds_write_b64 v20, v[142:143] offset:15232                  // 00000000E834: D89A3B80 00008E14
	ds_write_b64 v20, v[146:147] offset:32640                  // 00000000E83C: D89A7F80 00009214
	ds_write_b64 v20, v[150:151] offset:50048                  // 00000000E844: D89AC380 00009614
	s_waitcnt lgkmcnt(0)                                       // 00000000E84C: BF8CC07F
	s_barrier                                                  // 00000000E850: BF8A0000
	ds_read_b32 v58, v21                                       // 00000000E854: D86C0000 3A000015
	ds_read_b32 v59, v21 offset:64                             // 00000000E85C: D86C0040 3B000015
	ds_read_b32 v62, v21 offset:2176                           // 00000000E864: D86C0880 3E000015
	ds_read_b32 v63, v21 offset:2240                           // 00000000E86C: D86C08C0 3F000015
	ds_read_b32 v66, v21 offset:4352                           // 00000000E874: D86C1100 42000015
	ds_read_b32 v67, v21 offset:4416                           // 00000000E87C: D86C1140 43000015
	ds_read_b32 v70, v21 offset:6528                           // 00000000E884: D86C1980 46000015
	ds_read_b32 v71, v21 offset:6592                           // 00000000E88C: D86C19C0 47000015
	ds_read_b32 v74, v21 offset:8704                           // 00000000E894: D86C2200 4A000015
	ds_read_b32 v75, v21 offset:8768                           // 00000000E89C: D86C2240 4B000015
	ds_read_b32 v78, v21 offset:10880                          // 00000000E8A4: D86C2A80 4E000015
	ds_read_b32 v79, v21 offset:10944                          // 00000000E8AC: D86C2AC0 4F000015
	ds_read_b32 v82, v21 offset:13056                          // 00000000E8B4: D86C3300 52000015
	ds_read_b32 v83, v21 offset:13120                          // 00000000E8BC: D86C3340 53000015
	ds_read_b32 v86, v21 offset:15232                          // 00000000E8C4: D86C3B80 56000015
	ds_read_b32 v87, v21 offset:15296                          // 00000000E8CC: D86C3BC0 57000015
	ds_read_b32 v90, v21 offset:17408                          // 00000000E8D4: D86C4400 5A000015
	ds_read_b32 v91, v21 offset:17472                          // 00000000E8DC: D86C4440 5B000015
	ds_read_b32 v94, v21 offset:19584                          // 00000000E8E4: D86C4C80 5E000015
	ds_read_b32 v95, v21 offset:19648                          // 00000000E8EC: D86C4CC0 5F000015
	ds_read_b32 v98, v21 offset:21760                          // 00000000E8F4: D86C5500 62000015
	ds_read_b32 v99, v21 offset:21824                          // 00000000E8FC: D86C5540 63000015
	ds_read_b32 v102, v21 offset:23936                         // 00000000E904: D86C5D80 66000015
	ds_read_b32 v103, v21 offset:24000                         // 00000000E90C: D86C5DC0 67000015
	ds_read_b32 v106, v21 offset:26112                         // 00000000E914: D86C6600 6A000015
	ds_read_b32 v107, v21 offset:26176                         // 00000000E91C: D86C6640 6B000015
	ds_read_b32 v110, v21 offset:28288                         // 00000000E924: D86C6E80 6E000015
	ds_read_b32 v111, v21 offset:28352                         // 00000000E92C: D86C6EC0 6F000015
	ds_read_b32 v114, v21 offset:30464                         // 00000000E934: D86C7700 72000015
	ds_read_b32 v115, v21 offset:30528                         // 00000000E93C: D86C7740 73000015
	ds_read_b32 v118, v21 offset:32640                         // 00000000E944: D86C7F80 76000015
	ds_read_b32 v119, v21 offset:32704                         // 00000000E94C: D86C7FC0 77000015
	ds_read_b32 v122, v21 offset:34816                         // 00000000E954: D86C8800 7A000015
	ds_read_b32 v123, v21 offset:34880                         // 00000000E95C: D86C8840 7B000015
	ds_read_b32 v126, v21 offset:36992                         // 00000000E964: D86C9080 7E000015
	ds_read_b32 v127, v21 offset:37056                         // 00000000E96C: D86C90C0 7F000015
	ds_read_b32 v130, v21 offset:39168                         // 00000000E974: D86C9900 82000015
	ds_read_b32 v131, v21 offset:39232                         // 00000000E97C: D86C9940 83000015
	ds_read_b32 v134, v21 offset:41344                         // 00000000E984: D86CA180 86000015
	ds_read_b32 v135, v21 offset:41408                         // 00000000E98C: D86CA1C0 87000015
	ds_read_b32 v138, v21 offset:43520                         // 00000000E994: D86CAA00 8A000015
	ds_read_b32 v139, v21 offset:43584                         // 00000000E99C: D86CAA40 8B000015
	ds_read_b32 v142, v21 offset:45696                         // 00000000E9A4: D86CB280 8E000015
	ds_read_b32 v143, v21 offset:45760                         // 00000000E9AC: D86CB2C0 8F000015
	ds_read_b32 v146, v21 offset:47872                         // 00000000E9B4: D86CBB00 92000015
	ds_read_b32 v147, v21 offset:47936                         // 00000000E9BC: D86CBB40 93000015
	ds_read_b32 v150, v21 offset:50048                         // 00000000E9C4: D86CC380 96000015
	ds_read_b32 v151, v21 offset:50112                         // 00000000E9CC: D86CC3C0 97000015
	s_waitcnt lgkmcnt(0)                                       // 00000000E9D4: BF8CC07F
	v_mov_b32_e32 v7, 0                                        // 00000000E9D8: 7E0E0280
	s_mov_b64 exec, s[36:37]                                   // 00000000E9DC: BEFE0124
	v_mov_b32_e32 v6, v41                                      // 00000000E9E0: 7E0C0329
	s_mov_b64 s[60:61], 0                                      // 00000000E9E4: BEBC0180
	v_readlane_b32 s82, v3, 0                                  // 00000000E9E8: D2890052 00010103
	s_and_b32 s82, s82, 0xffffff                               // 00000000E9F0: 8652FF52 00FFFFFF
	s_cmp_lt_u32 s82, s66                                      // 00000000E9F8: BF0A4252
	s_cselect_b32 s20, s36, s60                                // 00000000E9FC: 85143C24
	v_readlane_b32 s82, v3, 1                                  // 00000000EA00: D2890052 00010303
	s_and_b32 s82, s82, 0xffffff                               // 00000000EA08: 8652FF52 00FFFFFF
	s_cmp_lt_u32 s82, s66                                      // 00000000EA10: BF0A4252
	s_cselect_b32 s21, s36, s60                                // 00000000EA14: 85153C24
	s_mov_b64 exec, s[20:21]                                   // 00000000EA18: BEFE0114
	global_atomic_add_f32 v6, v58, s[8:9] offset:8             // 00000000EA1C: DD348008 00083A06
	global_atomic_add_f32 v6, v62, s[8:9] offset:264           // 00000000EA24: DD348108 00083E06
	global_atomic_add_f32 v6, v66, s[8:9] offset:520           // 00000000EA2C: DD348208 00084206
	global_atomic_add_f32 v6, v70, s[8:9] offset:776           // 00000000EA34: DD348308 00084606
	global_atomic_add_f32 v6, v74, s[8:9] offset:1032          // 00000000EA3C: DD348408 00084A06
	global_atomic_add_f32 v6, v78, s[8:9] offset:1288          // 00000000EA44: DD348508 00084E06
	global_atomic_add_f32 v6, v82, s[8:9] offset:1544          // 00000000EA4C: DD348608 00085206
	global_atomic_add_f32 v6, v86, s[8:9] offset:1800          // 00000000EA54: DD348708 00085606
	s_mov_b64 exec, s[36:37]                                   // 00000000EA5C: BEFE0124
	v_mov_b32_e32 v6, v42                                      // 00000000EA60: 7E0C032A
	s_mov_b64 s[60:61], 0                                      // 00000000EA64: BEBC0180
	v_readlane_b32 s82, v3, 2                                  // 00000000EA68: D2890052 00010503
	s_and_b32 s82, s82, 0xffffff                               // 00000000EA70: 8652FF52 00FFFFFF
	s_cmp_lt_u32 s82, s66                                      // 00000000EA78: BF0A4252
	s_cselect_b32 s20, s36, s60                                // 00000000EA7C: 85143C24
	v_readlane_b32 s82, v3, 3                                  // 00000000EA80: D2890052 00010703
	s_and_b32 s82, s82, 0xffffff                               // 00000000EA88: 8652FF52 00FFFFFF
	s_cmp_lt_u32 s82, s66                                      // 00000000EA90: BF0A4252
	s_cselect_b32 s21, s36, s60                                // 00000000EA94: 85153C24
	s_mov_b64 exec, s[20:21]                                   // 00000000EA98: BEFE0114
	global_atomic_add_f32 v6, v59, s[8:9] offset:8             // 00000000EA9C: DD348008 00083B06
	global_atomic_add_f32 v6, v63, s[8:9] offset:264           // 00000000EAA4: DD348108 00083F06
	global_atomic_add_f32 v6, v67, s[8:9] offset:520           // 00000000EAAC: DD348208 00084306
	global_atomic_add_f32 v6, v71, s[8:9] offset:776           // 00000000EAB4: DD348308 00084706
	global_atomic_add_f32 v6, v75, s[8:9] offset:1032          // 00000000EABC: DD348408 00084B06
	global_atomic_add_f32 v6, v79, s[8:9] offset:1288          // 00000000EAC4: DD348508 00084F06
	global_atomic_add_f32 v6, v83, s[8:9] offset:1544          // 00000000EACC: DD348608 00085306
	global_atomic_add_f32 v6, v87, s[8:9] offset:1800          // 00000000EAD4: DD348708 00085706
	s_mov_b64 exec, s[36:37]                                   // 00000000EADC: BEFE0124
	v_mov_b32_e32 v6, v43                                      // 00000000EAE0: 7E0C032B
	s_mov_b64 s[60:61], 0                                      // 00000000EAE4: BEBC0180
	v_readlane_b32 s82, v3, 4                                  // 00000000EAE8: D2890052 00010903
	s_and_b32 s82, s82, 0xffffff                               // 00000000EAF0: 8652FF52 00FFFFFF
	s_cmp_lt_u32 s82, s66                                      // 00000000EAF8: BF0A4252
	s_cselect_b32 s20, s36, s60                                // 00000000EAFC: 85143C24
	v_readlane_b32 s82, v3, 5                                  // 00000000EB00: D2890052 00010B03
	s_and_b32 s82, s82, 0xffffff                               // 00000000EB08: 8652FF52 00FFFFFF
	s_cmp_lt_u32 s82, s66                                      // 00000000EB10: BF0A4252
	s_cselect_b32 s21, s36, s60                                // 00000000EB14: 85153C24
	s_mov_b64 exec, s[20:21]                                   // 00000000EB18: BEFE0114
	global_atomic_add_f32 v6, v90, s[8:9] offset:8             // 00000000EB1C: DD348008 00085A06
	global_atomic_add_f32 v6, v94, s[8:9] offset:264           // 00000000EB24: DD348108 00085E06
	global_atomic_add_f32 v6, v98, s[8:9] offset:520           // 00000000EB2C: DD348208 00086206
	global_atomic_add_f32 v6, v102, s[8:9] offset:776          // 00000000EB34: DD348308 00086606
	global_atomic_add_f32 v6, v106, s[8:9] offset:1032         // 00000000EB3C: DD348408 00086A06
	global_atomic_add_f32 v6, v110, s[8:9] offset:1288         // 00000000EB44: DD348508 00086E06
	global_atomic_add_f32 v6, v114, s[8:9] offset:1544         // 00000000EB4C: DD348608 00087206
	global_atomic_add_f32 v6, v118, s[8:9] offset:1800         // 00000000EB54: DD348708 00087606
	s_mov_b64 exec, s[36:37]                                   // 00000000EB5C: BEFE0124
	v_mov_b32_e32 v6, v44                                      // 00000000EB60: 7E0C032C
	s_mov_b64 s[60:61], 0                                      // 00000000EB64: BEBC0180
	v_readlane_b32 s82, v3, 6                                  // 00000000EB68: D2890052 00010D03
	s_and_b32 s82, s82, 0xffffff                               // 00000000EB70: 8652FF52 00FFFFFF
	s_cmp_lt_u32 s82, s66                                      // 00000000EB78: BF0A4252
	s_cselect_b32 s20, s36, s60                                // 00000000EB7C: 85143C24
	v_readlane_b32 s82, v3, 7                                  // 00000000EB80: D2890052 00010F03
	s_and_b32 s82, s82, 0xffffff                               // 00000000EB88: 8652FF52 00FFFFFF
	s_cmp_lt_u32 s82, s66                                      // 00000000EB90: BF0A4252
	s_cselect_b32 s21, s36, s60                                // 00000000EB94: 85153C24
	s_mov_b64 exec, s[20:21]                                   // 00000000EB98: BEFE0114
	global_atomic_add_f32 v6, v91, s[8:9] offset:8             // 00000000EB9C: DD348008 00085B06
	global_atomic_add_f32 v6, v95, s[8:9] offset:264           // 00000000EBA4: DD348108 00085F06
	global_atomic_add_f32 v6, v99, s[8:9] offset:520           // 00000000EBAC: DD348208 00086306
	global_atomic_add_f32 v6, v103, s[8:9] offset:776          // 00000000EBB4: DD348308 00086706
	global_atomic_add_f32 v6, v107, s[8:9] offset:1032         // 00000000EBBC: DD348408 00086B06
	global_atomic_add_f32 v6, v111, s[8:9] offset:1288         // 00000000EBC4: DD348508 00086F06
	global_atomic_add_f32 v6, v115, s[8:9] offset:1544         // 00000000EBCC: DD348608 00087306
	global_atomic_add_f32 v6, v119, s[8:9] offset:1800         // 00000000EBD4: DD348708 00087706
	s_mov_b64 exec, s[36:37]                                   // 00000000EBDC: BEFE0124
	v_mov_b32_e32 v6, v45                                      // 00000000EBE0: 7E0C032D
	s_mov_b64 s[60:61], 0                                      // 00000000EBE4: BEBC0180
	v_readlane_b32 s82, v3, 8                                  // 00000000EBE8: D2890052 00011103
	s_and_b32 s82, s82, 0xffffff                               // 00000000EBF0: 8652FF52 00FFFFFF
	s_cmp_lt_u32 s82, s66                                      // 00000000EBF8: BF0A4252
	s_cselect_b32 s20, s36, s60                                // 00000000EBFC: 85143C24
	v_readlane_b32 s82, v3, 9                                  // 00000000EC00: D2890052 00011303
	s_and_b32 s82, s82, 0xffffff                               // 00000000EC08: 8652FF52 00FFFFFF
	s_cmp_lt_u32 s82, s66                                      // 00000000EC10: BF0A4252
	s_cselect_b32 s21, s36, s60                                // 00000000EC14: 85153C24
	s_mov_b64 exec, s[20:21]                                   // 00000000EC18: BEFE0114
	global_atomic_add_f32 v6, v122, s[8:9] offset:8            // 00000000EC1C: DD348008 00087A06
	global_atomic_add_f32 v6, v126, s[8:9] offset:264          // 00000000EC24: DD348108 00087E06
	global_atomic_add_f32 v6, v130, s[8:9] offset:520          // 00000000EC2C: DD348208 00088206
	global_atomic_add_f32 v6, v134, s[8:9] offset:776          // 00000000EC34: DD348308 00088606
	global_atomic_add_f32 v6, v138, s[8:9] offset:1032         // 00000000EC3C: DD348408 00088A06
	global_atomic_add_f32 v6, v142, s[8:9] offset:1288         // 00000000EC44: DD348508 00088E06
	global_atomic_add_f32 v6, v146, s[8:9] offset:1544         // 00000000EC4C: DD348608 00089206
	global_atomic_add_f32 v6, v150, s[8:9] offset:1800         // 00000000EC54: DD348708 00089606
	s_mov_b64 exec, s[36:37]                                   // 00000000EC5C: BEFE0124
	v_mov_b32_e32 v6, v46                                      // 00000000EC60: 7E0C032E
	s_mov_b64 s[60:61], 0                                      // 00000000EC64: BEBC0180
	v_readlane_b32 s82, v3, 10                                 // 00000000EC68: D2890052 00011503
	s_and_b32 s82, s82, 0xffffff                               // 00000000EC70: 8652FF52 00FFFFFF
	s_cmp_lt_u32 s82, s66                                      // 00000000EC78: BF0A4252
	s_cselect_b32 s20, s36, s60                                // 00000000EC7C: 85143C24
	v_readlane_b32 s82, v3, 11                                 // 00000000EC80: D2890052 00011703
	s_and_b32 s82, s82, 0xffffff                               // 00000000EC88: 8652FF52 00FFFFFF
	s_cmp_lt_u32 s82, s66                                      // 00000000EC90: BF0A4252
	s_cselect_b32 s21, s36, s60                                // 00000000EC94: 85153C24
	s_mov_b64 exec, s[20:21]                                   // 00000000EC98: BEFE0114
	global_atomic_add_f32 v6, v123, s[8:9] offset:8            // 00000000EC9C: DD348008 00087B06
	global_atomic_add_f32 v6, v127, s[8:9] offset:264          // 00000000ECA4: DD348108 00087F06
	global_atomic_add_f32 v6, v131, s[8:9] offset:520          // 00000000ECAC: DD348208 00088306
	global_atomic_add_f32 v6, v135, s[8:9] offset:776          // 00000000ECB4: DD348308 00088706
	global_atomic_add_f32 v6, v139, s[8:9] offset:1032         // 00000000ECBC: DD348408 00088B06
	global_atomic_add_f32 v6, v143, s[8:9] offset:1288         // 00000000ECC4: DD348508 00088F06
	global_atomic_add_f32 v6, v147, s[8:9] offset:1544         // 00000000ECCC: DD348608 00089306
	global_atomic_add_f32 v6, v151, s[8:9] offset:1800         // 00000000ECD4: DD348708 00089706
	s_mov_b64 exec, s[36:37]                                   // 00000000ECDC: BEFE0124
	ds_write_b64 v20, v[152:153]                               // 00000000ECE0: D89A0000 00009814
	ds_write_b64 v20, v[156:157] offset:17408                  // 00000000ECE8: D89A4400 00009C14
	ds_write_b64 v20, v[160:161] offset:34816                  // 00000000ECF0: D89A8800 0000A014
	ds_write_b64 v20, v[164:165] offset:2176                   // 00000000ECF8: D89A0880 0000A414
	ds_write_b64 v20, v[168:169] offset:19584                  // 00000000ED00: D89A4C80 0000A814
	ds_write_b64 v20, v[172:173] offset:36992                  // 00000000ED08: D89A9080 0000AC14
	ds_write_b64 v20, v[176:177] offset:4352                   // 00000000ED10: D89A1100 0000B014
	ds_write_b64 v20, v[180:181] offset:21760                  // 00000000ED18: D89A5500 0000B414
	ds_write_b64 v20, v[184:185] offset:39168                  // 00000000ED20: D89A9900 0000B814
	ds_write_b64 v20, v[188:189] offset:6528                   // 00000000ED28: D89A1980 0000BC14
	ds_write_b64 v20, v[192:193] offset:23936                  // 00000000ED30: D89A5D80 0000C014
	ds_write_b64 v20, v[196:197] offset:41344                  // 00000000ED38: D89AA180 0000C414
	ds_write_b64 v20, v[200:201] offset:8704                   // 00000000ED40: D89A2200 0000C814
	ds_write_b64 v20, v[204:205] offset:26112                  // 00000000ED48: D89A6600 0000CC14
	ds_write_b64 v20, v[208:209] offset:43520                  // 00000000ED50: D89AAA00 0000D014
	ds_write_b64 v20, v[212:213] offset:10880                  // 00000000ED58: D89A2A80 0000D414
	ds_write_b64 v20, v[216:217] offset:28288                  // 00000000ED60: D89A6E80 0000D814
	ds_write_b64 v20, v[220:221] offset:45696                  // 00000000ED68: D89AB280 0000DC14
	ds_write_b64 v20, v[224:225] offset:13056                  // 00000000ED70: D89A3300 0000E014
	ds_write_b64 v20, v[228:229] offset:30464                  // 00000000ED78: D89A7700 0000E414
	ds_write_b64 v20, v[232:233] offset:47872                  // 00000000ED80: D89ABB00 0000E814
	ds_write_b64 v20, v[236:237] offset:15232                  // 00000000ED88: D89A3B80 0000EC14
	ds_write_b64 v20, v[240:241] offset:32640                  // 00000000ED90: D89A7F80 0000F014
	ds_write_b64 v20, v[244:245] offset:50048                  // 00000000ED98: D89AC380 0000F414
	s_waitcnt lgkmcnt(0)                                       // 00000000EDA0: BF8CC07F
	s_barrier                                                  // 00000000EDA4: BF8A0000
	ds_read_b32 v152, v21                                      // 00000000EDA8: D86C0000 98000015
	ds_read_b32 v153, v21 offset:64                            // 00000000EDB0: D86C0040 99000015
	ds_read_b32 v156, v21 offset:2176                          // 00000000EDB8: D86C0880 9C000015
	ds_read_b32 v157, v21 offset:2240                          // 00000000EDC0: D86C08C0 9D000015
	ds_read_b32 v160, v21 offset:4352                          // 00000000EDC8: D86C1100 A0000015
	ds_read_b32 v161, v21 offset:4416                          // 00000000EDD0: D86C1140 A1000015
	ds_read_b32 v164, v21 offset:6528                          // 00000000EDD8: D86C1980 A4000015
	ds_read_b32 v165, v21 offset:6592                          // 00000000EDE0: D86C19C0 A5000015
	ds_read_b32 v168, v21 offset:8704                          // 00000000EDE8: D86C2200 A8000015
	ds_read_b32 v169, v21 offset:8768                          // 00000000EDF0: D86C2240 A9000015
	ds_read_b32 v172, v21 offset:10880                         // 00000000EDF8: D86C2A80 AC000015
	ds_read_b32 v173, v21 offset:10944                         // 00000000EE00: D86C2AC0 AD000015
	ds_read_b32 v176, v21 offset:13056                         // 00000000EE08: D86C3300 B0000015
	ds_read_b32 v177, v21 offset:13120                         // 00000000EE10: D86C3340 B1000015
	ds_read_b32 v180, v21 offset:15232                         // 00000000EE18: D86C3B80 B4000015
	ds_read_b32 v181, v21 offset:15296                         // 00000000EE20: D86C3BC0 B5000015
	ds_read_b32 v184, v21 offset:17408                         // 00000000EE28: D86C4400 B8000015
	ds_read_b32 v185, v21 offset:17472                         // 00000000EE30: D86C4440 B9000015
	ds_read_b32 v188, v21 offset:19584                         // 00000000EE38: D86C4C80 BC000015
	ds_read_b32 v189, v21 offset:19648                         // 00000000EE40: D86C4CC0 BD000015
	ds_read_b32 v192, v21 offset:21760                         // 00000000EE48: D86C5500 C0000015
	ds_read_b32 v193, v21 offset:21824                         // 00000000EE50: D86C5540 C1000015
	ds_read_b32 v196, v21 offset:23936                         // 00000000EE58: D86C5D80 C4000015
	ds_read_b32 v197, v21 offset:24000                         // 00000000EE60: D86C5DC0 C5000015
	ds_read_b32 v200, v21 offset:26112                         // 00000000EE68: D86C6600 C8000015
	ds_read_b32 v201, v21 offset:26176                         // 00000000EE70: D86C6640 C9000015
	ds_read_b32 v204, v21 offset:28288                         // 00000000EE78: D86C6E80 CC000015
	ds_read_b32 v205, v21 offset:28352                         // 00000000EE80: D86C6EC0 CD000015
	ds_read_b32 v208, v21 offset:30464                         // 00000000EE88: D86C7700 D0000015
	ds_read_b32 v209, v21 offset:30528                         // 00000000EE90: D86C7740 D1000015
	ds_read_b32 v212, v21 offset:32640                         // 00000000EE98: D86C7F80 D4000015
	ds_read_b32 v213, v21 offset:32704                         // 00000000EEA0: D86C7FC0 D5000015
	ds_read_b32 v216, v21 offset:34816                         // 00000000EEA8: D86C8800 D8000015
	ds_read_b32 v217, v21 offset:34880                         // 00000000EEB0: D86C8840 D9000015
	ds_read_b32 v220, v21 offset:36992                         // 00000000EEB8: D86C9080 DC000015
	ds_read_b32 v221, v21 offset:37056                         // 00000000EEC0: D86C90C0 DD000015
	ds_read_b32 v224, v21 offset:39168                         // 00000000EEC8: D86C9900 E0000015
	ds_read_b32 v225, v21 offset:39232                         // 00000000EED0: D86C9940 E1000015
	ds_read_b32 v228, v21 offset:41344                         // 00000000EED8: D86CA180 E4000015
	ds_read_b32 v229, v21 offset:41408                         // 00000000EEE0: D86CA1C0 E5000015
	ds_read_b32 v232, v21 offset:43520                         // 00000000EEE8: D86CAA00 E8000015
	ds_read_b32 v233, v21 offset:43584                         // 00000000EEF0: D86CAA40 E9000015
	ds_read_b32 v236, v21 offset:45696                         // 00000000EEF8: D86CB280 EC000015
	ds_read_b32 v237, v21 offset:45760                         // 00000000EF00: D86CB2C0 ED000015
	ds_read_b32 v240, v21 offset:47872                         // 00000000EF08: D86CBB00 F0000015
	ds_read_b32 v241, v21 offset:47936                         // 00000000EF10: D86CBB40 F1000015
	ds_read_b32 v244, v21 offset:50048                         // 00000000EF18: D86CC380 F4000015
	ds_read_b32 v245, v21 offset:50112                         // 00000000EF20: D86CC3C0 F5000015
	s_mul_i32 s60, s65, 4                                      // 00000000EF28: 923C8441
	s_add_u32 s8, s60, s8                                      // 00000000EF2C: 8008083C
	s_addc_u32 s9, 0, s9                                       // 00000000EF30: 82090980
	s_waitcnt lgkmcnt(0)                                       // 00000000EF34: BF8CC07F
	v_mov_b32_e32 v7, 0                                        // 00000000EF38: 7E0E0280
	s_mov_b64 exec, s[36:37]                                   // 00000000EF3C: BEFE0124
	v_mov_b32_e32 v6, v41                                      // 00000000EF40: 7E0C0329
	s_mov_b64 s[60:61], 0                                      // 00000000EF44: BEBC0180
	v_readlane_b32 s82, v3, 0                                  // 00000000EF48: D2890052 00010103
	s_and_b32 s82, s82, 0xffffff                               // 00000000EF50: 8652FF52 00FFFFFF
	s_cmp_lt_u32 s82, s66                                      // 00000000EF58: BF0A4252
	s_cselect_b32 s20, s36, s60                                // 00000000EF5C: 85143C24
	v_readlane_b32 s82, v3, 1                                  // 00000000EF60: D2890052 00010303
	s_and_b32 s82, s82, 0xffffff                               // 00000000EF68: 8652FF52 00FFFFFF
	s_cmp_lt_u32 s82, s66                                      // 00000000EF70: BF0A4252
	s_cselect_b32 s21, s36, s60                                // 00000000EF74: 85153C24
	s_mov_b64 exec, s[20:21]                                   // 00000000EF78: BEFE0114
	global_atomic_add_f32 v6, v152, s[8:9]                     // 00000000EF7C: DD348000 00089806
	global_atomic_add_f32 v6, v156, s[8:9] offset:256          // 00000000EF84: DD348100 00089C06
	global_atomic_add_f32 v6, v160, s[8:9] offset:512          // 00000000EF8C: DD348200 0008A006
	global_atomic_add_f32 v6, v164, s[8:9] offset:768          // 00000000EF94: DD348300 0008A406
	global_atomic_add_f32 v6, v168, s[8:9] offset:1024         // 00000000EF9C: DD348400 0008A806
	global_atomic_add_f32 v6, v172, s[8:9] offset:1280         // 00000000EFA4: DD348500 0008AC06
	global_atomic_add_f32 v6, v176, s[8:9] offset:1536         // 00000000EFAC: DD348600 0008B006
	global_atomic_add_f32 v6, v180, s[8:9] offset:1792         // 00000000EFB4: DD348700 0008B406
	s_mov_b64 exec, s[36:37]                                   // 00000000EFBC: BEFE0124
	v_mov_b32_e32 v6, v42                                      // 00000000EFC0: 7E0C032A
	s_mov_b64 s[60:61], 0                                      // 00000000EFC4: BEBC0180
	v_readlane_b32 s82, v3, 2                                  // 00000000EFC8: D2890052 00010503
	s_and_b32 s82, s82, 0xffffff                               // 00000000EFD0: 8652FF52 00FFFFFF
	s_cmp_lt_u32 s82, s66                                      // 00000000EFD8: BF0A4252
	s_cselect_b32 s20, s36, s60                                // 00000000EFDC: 85143C24
	v_readlane_b32 s82, v3, 3                                  // 00000000EFE0: D2890052 00010703
	s_and_b32 s82, s82, 0xffffff                               // 00000000EFE8: 8652FF52 00FFFFFF
	s_cmp_lt_u32 s82, s66                                      // 00000000EFF0: BF0A4252
	s_cselect_b32 s21, s36, s60                                // 00000000EFF4: 85153C24
	s_mov_b64 exec, s[20:21]                                   // 00000000EFF8: BEFE0114
	global_atomic_add_f32 v6, v153, s[8:9]                     // 00000000EFFC: DD348000 00089906
	global_atomic_add_f32 v6, v157, s[8:9] offset:256          // 00000000F004: DD348100 00089D06
	global_atomic_add_f32 v6, v161, s[8:9] offset:512          // 00000000F00C: DD348200 0008A106
	global_atomic_add_f32 v6, v165, s[8:9] offset:768          // 00000000F014: DD348300 0008A506
	global_atomic_add_f32 v6, v169, s[8:9] offset:1024         // 00000000F01C: DD348400 0008A906
	global_atomic_add_f32 v6, v173, s[8:9] offset:1280         // 00000000F024: DD348500 0008AD06
	global_atomic_add_f32 v6, v177, s[8:9] offset:1536         // 00000000F02C: DD348600 0008B106
	global_atomic_add_f32 v6, v181, s[8:9] offset:1792         // 00000000F034: DD348700 0008B506
	s_mov_b64 exec, s[36:37]                                   // 00000000F03C: BEFE0124
	v_mov_b32_e32 v6, v43                                      // 00000000F040: 7E0C032B
	s_mov_b64 s[60:61], 0                                      // 00000000F044: BEBC0180
	v_readlane_b32 s82, v3, 4                                  // 00000000F048: D2890052 00010903
	s_and_b32 s82, s82, 0xffffff                               // 00000000F050: 8652FF52 00FFFFFF
	s_cmp_lt_u32 s82, s66                                      // 00000000F058: BF0A4252
	s_cselect_b32 s20, s36, s60                                // 00000000F05C: 85143C24
	v_readlane_b32 s82, v3, 5                                  // 00000000F060: D2890052 00010B03
	s_and_b32 s82, s82, 0xffffff                               // 00000000F068: 8652FF52 00FFFFFF
	s_cmp_lt_u32 s82, s66                                      // 00000000F070: BF0A4252
	s_cselect_b32 s21, s36, s60                                // 00000000F074: 85153C24
	s_mov_b64 exec, s[20:21]                                   // 00000000F078: BEFE0114
	global_atomic_add_f32 v6, v184, s[8:9]                     // 00000000F07C: DD348000 0008B806
	global_atomic_add_f32 v6, v188, s[8:9] offset:256          // 00000000F084: DD348100 0008BC06
	global_atomic_add_f32 v6, v192, s[8:9] offset:512          // 00000000F08C: DD348200 0008C006
	global_atomic_add_f32 v6, v196, s[8:9] offset:768          // 00000000F094: DD348300 0008C406
	global_atomic_add_f32 v6, v200, s[8:9] offset:1024         // 00000000F09C: DD348400 0008C806
	global_atomic_add_f32 v6, v204, s[8:9] offset:1280         // 00000000F0A4: DD348500 0008CC06
	global_atomic_add_f32 v6, v208, s[8:9] offset:1536         // 00000000F0AC: DD348600 0008D006
	global_atomic_add_f32 v6, v212, s[8:9] offset:1792         // 00000000F0B4: DD348700 0008D406
	s_mov_b64 exec, s[36:37]                                   // 00000000F0BC: BEFE0124
	v_mov_b32_e32 v6, v44                                      // 00000000F0C0: 7E0C032C
	s_mov_b64 s[60:61], 0                                      // 00000000F0C4: BEBC0180
	v_readlane_b32 s82, v3, 6                                  // 00000000F0C8: D2890052 00010D03
	s_and_b32 s82, s82, 0xffffff                               // 00000000F0D0: 8652FF52 00FFFFFF
	s_cmp_lt_u32 s82, s66                                      // 00000000F0D8: BF0A4252
	s_cselect_b32 s20, s36, s60                                // 00000000F0DC: 85143C24
	v_readlane_b32 s82, v3, 7                                  // 00000000F0E0: D2890052 00010F03
	s_and_b32 s82, s82, 0xffffff                               // 00000000F0E8: 8652FF52 00FFFFFF
	s_cmp_lt_u32 s82, s66                                      // 00000000F0F0: BF0A4252
	s_cselect_b32 s21, s36, s60                                // 00000000F0F4: 85153C24
	s_mov_b64 exec, s[20:21]                                   // 00000000F0F8: BEFE0114
	global_atomic_add_f32 v6, v185, s[8:9]                     // 00000000F0FC: DD348000 0008B906
	global_atomic_add_f32 v6, v189, s[8:9] offset:256          // 00000000F104: DD348100 0008BD06
	global_atomic_add_f32 v6, v193, s[8:9] offset:512          // 00000000F10C: DD348200 0008C106
	global_atomic_add_f32 v6, v197, s[8:9] offset:768          // 00000000F114: DD348300 0008C506
	global_atomic_add_f32 v6, v201, s[8:9] offset:1024         // 00000000F11C: DD348400 0008C906
	global_atomic_add_f32 v6, v205, s[8:9] offset:1280         // 00000000F124: DD348500 0008CD06
	global_atomic_add_f32 v6, v209, s[8:9] offset:1536         // 00000000F12C: DD348600 0008D106
	global_atomic_add_f32 v6, v213, s[8:9] offset:1792         // 00000000F134: DD348700 0008D506
	s_mov_b64 exec, s[36:37]                                   // 00000000F13C: BEFE0124
	v_mov_b32_e32 v6, v45                                      // 00000000F140: 7E0C032D
	s_mov_b64 s[60:61], 0                                      // 00000000F144: BEBC0180
	v_readlane_b32 s82, v3, 8                                  // 00000000F148: D2890052 00011103
	s_and_b32 s82, s82, 0xffffff                               // 00000000F150: 8652FF52 00FFFFFF
	s_cmp_lt_u32 s82, s66                                      // 00000000F158: BF0A4252
	s_cselect_b32 s20, s36, s60                                // 00000000F15C: 85143C24
	v_readlane_b32 s82, v3, 9                                  // 00000000F160: D2890052 00011303
	s_and_b32 s82, s82, 0xffffff                               // 00000000F168: 8652FF52 00FFFFFF
	s_cmp_lt_u32 s82, s66                                      // 00000000F170: BF0A4252
	s_cselect_b32 s21, s36, s60                                // 00000000F174: 85153C24
	s_mov_b64 exec, s[20:21]                                   // 00000000F178: BEFE0114
	global_atomic_add_f32 v6, v216, s[8:9]                     // 00000000F17C: DD348000 0008D806
	global_atomic_add_f32 v6, v220, s[8:9] offset:256          // 00000000F184: DD348100 0008DC06
	global_atomic_add_f32 v6, v224, s[8:9] offset:512          // 00000000F18C: DD348200 0008E006
	global_atomic_add_f32 v6, v228, s[8:9] offset:768          // 00000000F194: DD348300 0008E406
	global_atomic_add_f32 v6, v232, s[8:9] offset:1024         // 00000000F19C: DD348400 0008E806
	global_atomic_add_f32 v6, v236, s[8:9] offset:1280         // 00000000F1A4: DD348500 0008EC06
	global_atomic_add_f32 v6, v240, s[8:9] offset:1536         // 00000000F1AC: DD348600 0008F006
	global_atomic_add_f32 v6, v244, s[8:9] offset:1792         // 00000000F1B4: DD348700 0008F406
	s_mov_b64 exec, s[36:37]                                   // 00000000F1BC: BEFE0124
	v_mov_b32_e32 v6, v46                                      // 00000000F1C0: 7E0C032E
	s_mov_b64 s[60:61], 0                                      // 00000000F1C4: BEBC0180
	v_readlane_b32 s82, v3, 10                                 // 00000000F1C8: D2890052 00011503
	s_and_b32 s82, s82, 0xffffff                               // 00000000F1D0: 8652FF52 00FFFFFF
	s_cmp_lt_u32 s82, s66                                      // 00000000F1D8: BF0A4252
	s_cselect_b32 s20, s36, s60                                // 00000000F1DC: 85143C24
	v_readlane_b32 s82, v3, 11                                 // 00000000F1E0: D2890052 00011703
	s_and_b32 s82, s82, 0xffffff                               // 00000000F1E8: 8652FF52 00FFFFFF
	s_cmp_lt_u32 s82, s66                                      // 00000000F1F0: BF0A4252
	s_cselect_b32 s21, s36, s60                                // 00000000F1F4: 85153C24
	s_mov_b64 exec, s[20:21]                                   // 00000000F1F8: BEFE0114
	global_atomic_add_f32 v6, v217, s[8:9]                     // 00000000F1FC: DD348000 0008D906
	global_atomic_add_f32 v6, v221, s[8:9] offset:256          // 00000000F204: DD348100 0008DD06
	global_atomic_add_f32 v6, v225, s[8:9] offset:512          // 00000000F20C: DD348200 0008E106
	global_atomic_add_f32 v6, v229, s[8:9] offset:768          // 00000000F214: DD348300 0008E506
	global_atomic_add_f32 v6, v233, s[8:9] offset:1024         // 00000000F21C: DD348400 0008E906
	global_atomic_add_f32 v6, v237, s[8:9] offset:1280         // 00000000F224: DD348500 0008ED06
	global_atomic_add_f32 v6, v241, s[8:9] offset:1536         // 00000000F22C: DD348600 0008F106
	global_atomic_add_f32 v6, v245, s[8:9] offset:1792         // 00000000F234: DD348700 0008F506
	s_mov_b64 exec, s[36:37]                                   // 00000000F23C: BEFE0124
	ds_write_b64 v20, v[154:155]                               // 00000000F240: D89A0000 00009A14
	ds_write_b64 v20, v[158:159] offset:17408                  // 00000000F248: D89A4400 00009E14
	ds_write_b64 v20, v[162:163] offset:34816                  // 00000000F250: D89A8800 0000A214
	ds_write_b64 v20, v[166:167] offset:2176                   // 00000000F258: D89A0880 0000A614
	ds_write_b64 v20, v[170:171] offset:19584                  // 00000000F260: D89A4C80 0000AA14
	ds_write_b64 v20, v[174:175] offset:36992                  // 00000000F268: D89A9080 0000AE14
	ds_write_b64 v20, v[178:179] offset:4352                   // 00000000F270: D89A1100 0000B214
	ds_write_b64 v20, v[182:183] offset:21760                  // 00000000F278: D89A5500 0000B614
	ds_write_b64 v20, v[186:187] offset:39168                  // 00000000F280: D89A9900 0000BA14
	ds_write_b64 v20, v[190:191] offset:6528                   // 00000000F288: D89A1980 0000BE14
	ds_write_b64 v20, v[194:195] offset:23936                  // 00000000F290: D89A5D80 0000C214
	ds_write_b64 v20, v[198:199] offset:41344                  // 00000000F298: D89AA180 0000C614
	ds_write_b64 v20, v[202:203] offset:8704                   // 00000000F2A0: D89A2200 0000CA14
	ds_write_b64 v20, v[206:207] offset:26112                  // 00000000F2A8: D89A6600 0000CE14
	ds_write_b64 v20, v[210:211] offset:43520                  // 00000000F2B0: D89AAA00 0000D214
	ds_write_b64 v20, v[214:215] offset:10880                  // 00000000F2B8: D89A2A80 0000D614
	ds_write_b64 v20, v[218:219] offset:28288                  // 00000000F2C0: D89A6E80 0000DA14
	ds_write_b64 v20, v[222:223] offset:45696                  // 00000000F2C8: D89AB280 0000DE14
	ds_write_b64 v20, v[226:227] offset:13056                  // 00000000F2D0: D89A3300 0000E214
	ds_write_b64 v20, v[230:231] offset:30464                  // 00000000F2D8: D89A7700 0000E614
	ds_write_b64 v20, v[234:235] offset:47872                  // 00000000F2E0: D89ABB00 0000EA14
	ds_write_b64 v20, v[238:239] offset:15232                  // 00000000F2E8: D89A3B80 0000EE14
	ds_write_b64 v20, v[242:243] offset:32640                  // 00000000F2F0: D89A7F80 0000F214
	ds_write_b64 v20, v[246:247] offset:50048                  // 00000000F2F8: D89AC380 0000F614
	s_waitcnt lgkmcnt(0)                                       // 00000000F300: BF8CC07F
	s_barrier                                                  // 00000000F304: BF8A0000
	ds_read_b32 v154, v21                                      // 00000000F308: D86C0000 9A000015
	ds_read_b32 v155, v21 offset:64                            // 00000000F310: D86C0040 9B000015
	ds_read_b32 v158, v21 offset:2176                          // 00000000F318: D86C0880 9E000015
	ds_read_b32 v159, v21 offset:2240                          // 00000000F320: D86C08C0 9F000015
	ds_read_b32 v162, v21 offset:4352                          // 00000000F328: D86C1100 A2000015
	ds_read_b32 v163, v21 offset:4416                          // 00000000F330: D86C1140 A3000015
	ds_read_b32 v166, v21 offset:6528                          // 00000000F338: D86C1980 A6000015
	ds_read_b32 v167, v21 offset:6592                          // 00000000F340: D86C19C0 A7000015
	ds_read_b32 v170, v21 offset:8704                          // 00000000F348: D86C2200 AA000015
	ds_read_b32 v171, v21 offset:8768                          // 00000000F350: D86C2240 AB000015
	ds_read_b32 v174, v21 offset:10880                         // 00000000F358: D86C2A80 AE000015
	ds_read_b32 v175, v21 offset:10944                         // 00000000F360: D86C2AC0 AF000015
	ds_read_b32 v178, v21 offset:13056                         // 00000000F368: D86C3300 B2000015
	ds_read_b32 v179, v21 offset:13120                         // 00000000F370: D86C3340 B3000015
	ds_read_b32 v182, v21 offset:15232                         // 00000000F378: D86C3B80 B6000015
	ds_read_b32 v183, v21 offset:15296                         // 00000000F380: D86C3BC0 B7000015
	ds_read_b32 v186, v21 offset:17408                         // 00000000F388: D86C4400 BA000015
	ds_read_b32 v187, v21 offset:17472                         // 00000000F390: D86C4440 BB000015
	ds_read_b32 v190, v21 offset:19584                         // 00000000F398: D86C4C80 BE000015
	ds_read_b32 v191, v21 offset:19648                         // 00000000F3A0: D86C4CC0 BF000015
	ds_read_b32 v194, v21 offset:21760                         // 00000000F3A8: D86C5500 C2000015
	ds_read_b32 v195, v21 offset:21824                         // 00000000F3B0: D86C5540 C3000015
	ds_read_b32 v198, v21 offset:23936                         // 00000000F3B8: D86C5D80 C6000015
	ds_read_b32 v199, v21 offset:24000                         // 00000000F3C0: D86C5DC0 C7000015
	ds_read_b32 v202, v21 offset:26112                         // 00000000F3C8: D86C6600 CA000015
	ds_read_b32 v203, v21 offset:26176                         // 00000000F3D0: D86C6640 CB000015
	ds_read_b32 v206, v21 offset:28288                         // 00000000F3D8: D86C6E80 CE000015
	ds_read_b32 v207, v21 offset:28352                         // 00000000F3E0: D86C6EC0 CF000015
	ds_read_b32 v210, v21 offset:30464                         // 00000000F3E8: D86C7700 D2000015
	ds_read_b32 v211, v21 offset:30528                         // 00000000F3F0: D86C7740 D3000015
	ds_read_b32 v214, v21 offset:32640                         // 00000000F3F8: D86C7F80 D6000015
	ds_read_b32 v215, v21 offset:32704                         // 00000000F400: D86C7FC0 D7000015
	ds_read_b32 v218, v21 offset:34816                         // 00000000F408: D86C8800 DA000015
	ds_read_b32 v219, v21 offset:34880                         // 00000000F410: D86C8840 DB000015
	ds_read_b32 v222, v21 offset:36992                         // 00000000F418: D86C9080 DE000015
	ds_read_b32 v223, v21 offset:37056                         // 00000000F420: D86C90C0 DF000015
	ds_read_b32 v226, v21 offset:39168                         // 00000000F428: D86C9900 E2000015
	ds_read_b32 v227, v21 offset:39232                         // 00000000F430: D86C9940 E3000015
	ds_read_b32 v230, v21 offset:41344                         // 00000000F438: D86CA180 E6000015
	ds_read_b32 v231, v21 offset:41408                         // 00000000F440: D86CA1C0 E7000015
	ds_read_b32 v234, v21 offset:43520                         // 00000000F448: D86CAA00 EA000015
	ds_read_b32 v235, v21 offset:43584                         // 00000000F450: D86CAA40 EB000015
	ds_read_b32 v238, v21 offset:45696                         // 00000000F458: D86CB280 EE000015
	ds_read_b32 v239, v21 offset:45760                         // 00000000F460: D86CB2C0 EF000015
	ds_read_b32 v242, v21 offset:47872                         // 00000000F468: D86CBB00 F2000015
	ds_read_b32 v243, v21 offset:47936                         // 00000000F470: D86CBB40 F3000015
	ds_read_b32 v246, v21 offset:50048                         // 00000000F478: D86CC380 F6000015
	ds_read_b32 v247, v21 offset:50112                         // 00000000F480: D86CC3C0 F7000015
	s_waitcnt lgkmcnt(0)                                       // 00000000F488: BF8CC07F
	v_mov_b32_e32 v7, 0                                        // 00000000F48C: 7E0E0280
	s_mov_b64 exec, s[36:37]                                   // 00000000F490: BEFE0124
	v_mov_b32_e32 v6, v41                                      // 00000000F494: 7E0C0329
	s_mov_b64 s[60:61], 0                                      // 00000000F498: BEBC0180
	v_readlane_b32 s82, v3, 0                                  // 00000000F49C: D2890052 00010103
	s_and_b32 s82, s82, 0xffffff                               // 00000000F4A4: 8652FF52 00FFFFFF
	s_cmp_lt_u32 s82, s66                                      // 00000000F4AC: BF0A4252
	s_cselect_b32 s20, s36, s60                                // 00000000F4B0: 85143C24
	v_readlane_b32 s82, v3, 1                                  // 00000000F4B4: D2890052 00010303
	s_and_b32 s82, s82, 0xffffff                               // 00000000F4BC: 8652FF52 00FFFFFF
	s_cmp_lt_u32 s82, s66                                      // 00000000F4C4: BF0A4252
	s_cselect_b32 s21, s36, s60                                // 00000000F4C8: 85153C24
	s_mov_b64 exec, s[20:21]                                   // 00000000F4CC: BEFE0114
	global_atomic_add_f32 v6, v154, s[8:9] offset:8            // 00000000F4D0: DD348008 00089A06
	global_atomic_add_f32 v6, v158, s[8:9] offset:264          // 00000000F4D8: DD348108 00089E06
	global_atomic_add_f32 v6, v162, s[8:9] offset:520          // 00000000F4E0: DD348208 0008A206
	global_atomic_add_f32 v6, v166, s[8:9] offset:776          // 00000000F4E8: DD348308 0008A606
	global_atomic_add_f32 v6, v170, s[8:9] offset:1032         // 00000000F4F0: DD348408 0008AA06
	global_atomic_add_f32 v6, v174, s[8:9] offset:1288         // 00000000F4F8: DD348508 0008AE06
	global_atomic_add_f32 v6, v178, s[8:9] offset:1544         // 00000000F500: DD348608 0008B206
	global_atomic_add_f32 v6, v182, s[8:9] offset:1800         // 00000000F508: DD348708 0008B606
	s_mov_b64 exec, s[36:37]                                   // 00000000F510: BEFE0124
	v_mov_b32_e32 v6, v42                                      // 00000000F514: 7E0C032A
	s_mov_b64 s[60:61], 0                                      // 00000000F518: BEBC0180
	v_readlane_b32 s82, v3, 2                                  // 00000000F51C: D2890052 00010503
	s_and_b32 s82, s82, 0xffffff                               // 00000000F524: 8652FF52 00FFFFFF
	s_cmp_lt_u32 s82, s66                                      // 00000000F52C: BF0A4252
	s_cselect_b32 s20, s36, s60                                // 00000000F530: 85143C24
	v_readlane_b32 s82, v3, 3                                  // 00000000F534: D2890052 00010703
	s_and_b32 s82, s82, 0xffffff                               // 00000000F53C: 8652FF52 00FFFFFF
	s_cmp_lt_u32 s82, s66                                      // 00000000F544: BF0A4252
	s_cselect_b32 s21, s36, s60                                // 00000000F548: 85153C24
	s_mov_b64 exec, s[20:21]                                   // 00000000F54C: BEFE0114
	global_atomic_add_f32 v6, v155, s[8:9] offset:8            // 00000000F550: DD348008 00089B06
	global_atomic_add_f32 v6, v159, s[8:9] offset:264          // 00000000F558: DD348108 00089F06
	global_atomic_add_f32 v6, v163, s[8:9] offset:520          // 00000000F560: DD348208 0008A306
	global_atomic_add_f32 v6, v167, s[8:9] offset:776          // 00000000F568: DD348308 0008A706
	global_atomic_add_f32 v6, v171, s[8:9] offset:1032         // 00000000F570: DD348408 0008AB06
	global_atomic_add_f32 v6, v175, s[8:9] offset:1288         // 00000000F578: DD348508 0008AF06
	global_atomic_add_f32 v6, v179, s[8:9] offset:1544         // 00000000F580: DD348608 0008B306
	global_atomic_add_f32 v6, v183, s[8:9] offset:1800         // 00000000F588: DD348708 0008B706
	s_mov_b64 exec, s[36:37]                                   // 00000000F590: BEFE0124
	v_mov_b32_e32 v6, v43                                      // 00000000F594: 7E0C032B
	s_mov_b64 s[60:61], 0                                      // 00000000F598: BEBC0180
	v_readlane_b32 s82, v3, 4                                  // 00000000F59C: D2890052 00010903
	s_and_b32 s82, s82, 0xffffff                               // 00000000F5A4: 8652FF52 00FFFFFF
	s_cmp_lt_u32 s82, s66                                      // 00000000F5AC: BF0A4252
	s_cselect_b32 s20, s36, s60                                // 00000000F5B0: 85143C24
	v_readlane_b32 s82, v3, 5                                  // 00000000F5B4: D2890052 00010B03
	s_and_b32 s82, s82, 0xffffff                               // 00000000F5BC: 8652FF52 00FFFFFF
	s_cmp_lt_u32 s82, s66                                      // 00000000F5C4: BF0A4252
	s_cselect_b32 s21, s36, s60                                // 00000000F5C8: 85153C24
	s_mov_b64 exec, s[20:21]                                   // 00000000F5CC: BEFE0114
	global_atomic_add_f32 v6, v186, s[8:9] offset:8            // 00000000F5D0: DD348008 0008BA06
	global_atomic_add_f32 v6, v190, s[8:9] offset:264          // 00000000F5D8: DD348108 0008BE06
	global_atomic_add_f32 v6, v194, s[8:9] offset:520          // 00000000F5E0: DD348208 0008C206
	global_atomic_add_f32 v6, v198, s[8:9] offset:776          // 00000000F5E8: DD348308 0008C606
	global_atomic_add_f32 v6, v202, s[8:9] offset:1032         // 00000000F5F0: DD348408 0008CA06
	global_atomic_add_f32 v6, v206, s[8:9] offset:1288         // 00000000F5F8: DD348508 0008CE06
	global_atomic_add_f32 v6, v210, s[8:9] offset:1544         // 00000000F600: DD348608 0008D206
	global_atomic_add_f32 v6, v214, s[8:9] offset:1800         // 00000000F608: DD348708 0008D606
	s_mov_b64 exec, s[36:37]                                   // 00000000F610: BEFE0124
	v_mov_b32_e32 v6, v44                                      // 00000000F614: 7E0C032C
	s_mov_b64 s[60:61], 0                                      // 00000000F618: BEBC0180
	v_readlane_b32 s82, v3, 6                                  // 00000000F61C: D2890052 00010D03
	s_and_b32 s82, s82, 0xffffff                               // 00000000F624: 8652FF52 00FFFFFF
	s_cmp_lt_u32 s82, s66                                      // 00000000F62C: BF0A4252
	s_cselect_b32 s20, s36, s60                                // 00000000F630: 85143C24
	v_readlane_b32 s82, v3, 7                                  // 00000000F634: D2890052 00010F03
	s_and_b32 s82, s82, 0xffffff                               // 00000000F63C: 8652FF52 00FFFFFF
	s_cmp_lt_u32 s82, s66                                      // 00000000F644: BF0A4252
	s_cselect_b32 s21, s36, s60                                // 00000000F648: 85153C24
	s_mov_b64 exec, s[20:21]                                   // 00000000F64C: BEFE0114
	global_atomic_add_f32 v6, v187, s[8:9] offset:8            // 00000000F650: DD348008 0008BB06
	global_atomic_add_f32 v6, v191, s[8:9] offset:264          // 00000000F658: DD348108 0008BF06
	global_atomic_add_f32 v6, v195, s[8:9] offset:520          // 00000000F660: DD348208 0008C306
	global_atomic_add_f32 v6, v199, s[8:9] offset:776          // 00000000F668: DD348308 0008C706
	global_atomic_add_f32 v6, v203, s[8:9] offset:1032         // 00000000F670: DD348408 0008CB06
	global_atomic_add_f32 v6, v207, s[8:9] offset:1288         // 00000000F678: DD348508 0008CF06
	global_atomic_add_f32 v6, v211, s[8:9] offset:1544         // 00000000F680: DD348608 0008D306
	global_atomic_add_f32 v6, v215, s[8:9] offset:1800         // 00000000F688: DD348708 0008D706
	s_mov_b64 exec, s[36:37]                                   // 00000000F690: BEFE0124
	v_mov_b32_e32 v6, v45                                      // 00000000F694: 7E0C032D
	s_mov_b64 s[60:61], 0                                      // 00000000F698: BEBC0180
	v_readlane_b32 s82, v3, 8                                  // 00000000F69C: D2890052 00011103
	s_and_b32 s82, s82, 0xffffff                               // 00000000F6A4: 8652FF52 00FFFFFF
	s_cmp_lt_u32 s82, s66                                      // 00000000F6AC: BF0A4252
	s_cselect_b32 s20, s36, s60                                // 00000000F6B0: 85143C24
	v_readlane_b32 s82, v3, 9                                  // 00000000F6B4: D2890052 00011303
	s_and_b32 s82, s82, 0xffffff                               // 00000000F6BC: 8652FF52 00FFFFFF
	s_cmp_lt_u32 s82, s66                                      // 00000000F6C4: BF0A4252
	s_cselect_b32 s21, s36, s60                                // 00000000F6C8: 85153C24
	s_mov_b64 exec, s[20:21]                                   // 00000000F6CC: BEFE0114
	global_atomic_add_f32 v6, v218, s[8:9] offset:8            // 00000000F6D0: DD348008 0008DA06
	global_atomic_add_f32 v6, v222, s[8:9] offset:264          // 00000000F6D8: DD348108 0008DE06
	global_atomic_add_f32 v6, v226, s[8:9] offset:520          // 00000000F6E0: DD348208 0008E206
	global_atomic_add_f32 v6, v230, s[8:9] offset:776          // 00000000F6E8: DD348308 0008E606
	global_atomic_add_f32 v6, v234, s[8:9] offset:1032         // 00000000F6F0: DD348408 0008EA06
	global_atomic_add_f32 v6, v238, s[8:9] offset:1288         // 00000000F6F8: DD348508 0008EE06
	global_atomic_add_f32 v6, v242, s[8:9] offset:1544         // 00000000F700: DD348608 0008F206
	global_atomic_add_f32 v6, v246, s[8:9] offset:1800         // 00000000F708: DD348708 0008F606
	s_mov_b64 exec, s[36:37]                                   // 00000000F710: BEFE0124
	v_mov_b32_e32 v6, v46                                      // 00000000F714: 7E0C032E
	s_mov_b64 s[60:61], 0                                      // 00000000F718: BEBC0180
	v_readlane_b32 s82, v3, 10                                 // 00000000F71C: D2890052 00011503
	s_and_b32 s82, s82, 0xffffff                               // 00000000F724: 8652FF52 00FFFFFF
	s_cmp_lt_u32 s82, s66                                      // 00000000F72C: BF0A4252
	s_cselect_b32 s20, s36, s60                                // 00000000F730: 85143C24
	v_readlane_b32 s82, v3, 11                                 // 00000000F734: D2890052 00011703
	s_and_b32 s82, s82, 0xffffff                               // 00000000F73C: 8652FF52 00FFFFFF
	s_cmp_lt_u32 s82, s66                                      // 00000000F744: BF0A4252
	s_cselect_b32 s21, s36, s60                                // 00000000F748: 85153C24
	s_mov_b64 exec, s[20:21]                                   // 00000000F74C: BEFE0114
	global_atomic_add_f32 v6, v219, s[8:9] offset:8            // 00000000F750: DD348008 0008DB06
	global_atomic_add_f32 v6, v223, s[8:9] offset:264          // 00000000F758: DD348108 0008DF06
	global_atomic_add_f32 v6, v227, s[8:9] offset:520          // 00000000F760: DD348208 0008E306
	global_atomic_add_f32 v6, v231, s[8:9] offset:776          // 00000000F768: DD348308 0008E706
	global_atomic_add_f32 v6, v235, s[8:9] offset:1032         // 00000000F770: DD348408 0008EB06
	global_atomic_add_f32 v6, v239, s[8:9] offset:1288         // 00000000F778: DD348508 0008EF06
	global_atomic_add_f32 v6, v243, s[8:9] offset:1544         // 00000000F780: DD348608 0008F306
	global_atomic_add_f32 v6, v247, s[8:9] offset:1800         // 00000000F788: DD348708 0008F706
	s_mov_b64 exec, s[36:37]                                   // 00000000F790: BEFE0124
	s_branch label_3369                                        // 00000000F794: BF820000

000000000000f798 <label_3369>:
	s_waitcnt vmcnt(0) expcnt(0) lgkmcnt(0)                    // 00000000F798: BF8C0000
	s_endpgm                                                   // 00000000F79C: BF810000
